;; amdgpu-corpus repo=ROCm/rocFFT kind=compiled arch=gfx1030 opt=O3
	.text
	.amdgcn_target "amdgcn-amd-amdhsa--gfx1030"
	.amdhsa_code_object_version 6
	.protected	fft_rtc_back_len3200_factors_10_10_4_4_2_wgs_160_tpt_160_halfLds_dp_op_CI_CI_unitstride_sbrr_R2C_dirReg ; -- Begin function fft_rtc_back_len3200_factors_10_10_4_4_2_wgs_160_tpt_160_halfLds_dp_op_CI_CI_unitstride_sbrr_R2C_dirReg
	.globl	fft_rtc_back_len3200_factors_10_10_4_4_2_wgs_160_tpt_160_halfLds_dp_op_CI_CI_unitstride_sbrr_R2C_dirReg
	.p2align	8
	.type	fft_rtc_back_len3200_factors_10_10_4_4_2_wgs_160_tpt_160_halfLds_dp_op_CI_CI_unitstride_sbrr_R2C_dirReg,@function
fft_rtc_back_len3200_factors_10_10_4_4_2_wgs_160_tpt_160_halfLds_dp_op_CI_CI_unitstride_sbrr_R2C_dirReg: ; @fft_rtc_back_len3200_factors_10_10_4_4_2_wgs_160_tpt_160_halfLds_dp_op_CI_CI_unitstride_sbrr_R2C_dirReg
; %bb.0:
	s_clause 0x2
	s_load_dwordx4 s[12:15], s[4:5], 0x0
	s_load_dwordx4 s[8:11], s[4:5], 0x58
	;; [unrolled: 1-line block ×3, first 2 shown]
	v_mul_u32_u24_e32 v1, 0x19a, v0
	v_mov_b32_e32 v3, 0
	v_add_nc_u32_sdwa v5, s6, v1 dst_sel:DWORD dst_unused:UNUSED_PAD src0_sel:DWORD src1_sel:WORD_1
	v_mov_b32_e32 v1, 0
	v_mov_b32_e32 v6, v3
	v_mov_b32_e32 v2, 0
	s_waitcnt lgkmcnt(0)
	v_cmp_lt_u64_e64 s0, s[14:15], 2
	s_and_b32 vcc_lo, exec_lo, s0
	s_cbranch_vccnz .LBB0_8
; %bb.1:
	s_load_dwordx2 s[0:1], s[4:5], 0x10
	v_mov_b32_e32 v1, 0
	v_mov_b32_e32 v2, 0
	s_add_u32 s2, s18, 8
	s_addc_u32 s3, s19, 0
	s_add_u32 s6, s16, 8
	s_addc_u32 s7, s17, 0
	v_mov_b32_e32 v99, v2
	v_mov_b32_e32 v98, v1
	s_mov_b64 s[22:23], 1
	s_waitcnt lgkmcnt(0)
	s_add_u32 s20, s0, 8
	s_addc_u32 s21, s1, 0
.LBB0_2:                                ; =>This Inner Loop Header: Depth=1
	s_load_dwordx2 s[24:25], s[20:21], 0x0
                                        ; implicit-def: $vgpr100_vgpr101
	s_mov_b32 s0, exec_lo
	s_waitcnt lgkmcnt(0)
	v_or_b32_e32 v4, s25, v6
	v_cmpx_ne_u64_e32 0, v[3:4]
	s_xor_b32 s1, exec_lo, s0
	s_cbranch_execz .LBB0_4
; %bb.3:                                ;   in Loop: Header=BB0_2 Depth=1
	v_cvt_f32_u32_e32 v4, s24
	v_cvt_f32_u32_e32 v7, s25
	s_sub_u32 s0, 0, s24
	s_subb_u32 s26, 0, s25
	v_fmac_f32_e32 v4, 0x4f800000, v7
	v_rcp_f32_e32 v4, v4
	v_mul_f32_e32 v4, 0x5f7ffffc, v4
	v_mul_f32_e32 v7, 0x2f800000, v4
	v_trunc_f32_e32 v7, v7
	v_fmac_f32_e32 v4, 0xcf800000, v7
	v_cvt_u32_f32_e32 v7, v7
	v_cvt_u32_f32_e32 v4, v4
	v_mul_lo_u32 v8, s0, v7
	v_mul_hi_u32 v9, s0, v4
	v_mul_lo_u32 v10, s26, v4
	v_add_nc_u32_e32 v8, v9, v8
	v_mul_lo_u32 v9, s0, v4
	v_add_nc_u32_e32 v8, v8, v10
	v_mul_hi_u32 v10, v4, v9
	v_mul_lo_u32 v11, v4, v8
	v_mul_hi_u32 v12, v4, v8
	v_mul_hi_u32 v13, v7, v9
	v_mul_lo_u32 v9, v7, v9
	v_mul_hi_u32 v14, v7, v8
	v_mul_lo_u32 v8, v7, v8
	v_add_co_u32 v10, vcc_lo, v10, v11
	v_add_co_ci_u32_e32 v11, vcc_lo, 0, v12, vcc_lo
	v_add_co_u32 v9, vcc_lo, v10, v9
	v_add_co_ci_u32_e32 v9, vcc_lo, v11, v13, vcc_lo
	v_add_co_ci_u32_e32 v10, vcc_lo, 0, v14, vcc_lo
	v_add_co_u32 v8, vcc_lo, v9, v8
	v_add_co_ci_u32_e32 v9, vcc_lo, 0, v10, vcc_lo
	v_add_co_u32 v4, vcc_lo, v4, v8
	v_add_co_ci_u32_e32 v7, vcc_lo, v7, v9, vcc_lo
	v_mul_hi_u32 v8, s0, v4
	v_mul_lo_u32 v10, s26, v4
	v_mul_lo_u32 v9, s0, v7
	v_add_nc_u32_e32 v8, v8, v9
	v_mul_lo_u32 v9, s0, v4
	v_add_nc_u32_e32 v8, v8, v10
	v_mul_hi_u32 v10, v4, v9
	v_mul_lo_u32 v11, v4, v8
	v_mul_hi_u32 v12, v4, v8
	v_mul_hi_u32 v13, v7, v9
	v_mul_lo_u32 v9, v7, v9
	v_mul_hi_u32 v14, v7, v8
	v_mul_lo_u32 v8, v7, v8
	v_add_co_u32 v10, vcc_lo, v10, v11
	v_add_co_ci_u32_e32 v11, vcc_lo, 0, v12, vcc_lo
	v_add_co_u32 v9, vcc_lo, v10, v9
	v_add_co_ci_u32_e32 v9, vcc_lo, v11, v13, vcc_lo
	v_add_co_ci_u32_e32 v10, vcc_lo, 0, v14, vcc_lo
	v_add_co_u32 v8, vcc_lo, v9, v8
	v_add_co_ci_u32_e32 v9, vcc_lo, 0, v10, vcc_lo
	v_add_co_u32 v4, vcc_lo, v4, v8
	v_add_co_ci_u32_e32 v11, vcc_lo, v7, v9, vcc_lo
	v_mul_hi_u32 v13, v5, v4
	v_mad_u64_u32 v[9:10], null, v6, v4, 0
	v_mad_u64_u32 v[7:8], null, v5, v11, 0
	;; [unrolled: 1-line block ×3, first 2 shown]
	v_add_co_u32 v4, vcc_lo, v13, v7
	v_add_co_ci_u32_e32 v7, vcc_lo, 0, v8, vcc_lo
	v_add_co_u32 v4, vcc_lo, v4, v9
	v_add_co_ci_u32_e32 v4, vcc_lo, v7, v10, vcc_lo
	v_add_co_ci_u32_e32 v7, vcc_lo, 0, v12, vcc_lo
	v_add_co_u32 v4, vcc_lo, v4, v11
	v_add_co_ci_u32_e32 v9, vcc_lo, 0, v7, vcc_lo
	v_mul_lo_u32 v10, s25, v4
	v_mad_u64_u32 v[7:8], null, s24, v4, 0
	v_mul_lo_u32 v11, s24, v9
	v_sub_co_u32 v7, vcc_lo, v5, v7
	v_add3_u32 v8, v8, v11, v10
	v_sub_nc_u32_e32 v10, v6, v8
	v_subrev_co_ci_u32_e64 v10, s0, s25, v10, vcc_lo
	v_add_co_u32 v11, s0, v4, 2
	v_add_co_ci_u32_e64 v12, s0, 0, v9, s0
	v_sub_co_u32 v13, s0, v7, s24
	v_sub_co_ci_u32_e32 v8, vcc_lo, v6, v8, vcc_lo
	v_subrev_co_ci_u32_e64 v10, s0, 0, v10, s0
	v_cmp_le_u32_e32 vcc_lo, s24, v13
	v_cmp_eq_u32_e64 s0, s25, v8
	v_cndmask_b32_e64 v13, 0, -1, vcc_lo
	v_cmp_le_u32_e32 vcc_lo, s25, v10
	v_cndmask_b32_e64 v14, 0, -1, vcc_lo
	v_cmp_le_u32_e32 vcc_lo, s24, v7
	;; [unrolled: 2-line block ×3, first 2 shown]
	v_cndmask_b32_e64 v15, 0, -1, vcc_lo
	v_cmp_eq_u32_e32 vcc_lo, s25, v10
	v_cndmask_b32_e64 v7, v15, v7, s0
	v_cndmask_b32_e32 v10, v14, v13, vcc_lo
	v_add_co_u32 v13, vcc_lo, v4, 1
	v_add_co_ci_u32_e32 v14, vcc_lo, 0, v9, vcc_lo
	v_cmp_ne_u32_e32 vcc_lo, 0, v10
	v_cndmask_b32_e32 v8, v14, v12, vcc_lo
	v_cndmask_b32_e32 v10, v13, v11, vcc_lo
	v_cmp_ne_u32_e32 vcc_lo, 0, v7
	v_cndmask_b32_e32 v101, v9, v8, vcc_lo
	v_cndmask_b32_e32 v100, v4, v10, vcc_lo
.LBB0_4:                                ;   in Loop: Header=BB0_2 Depth=1
	s_andn2_saveexec_b32 s0, s1
	s_cbranch_execz .LBB0_6
; %bb.5:                                ;   in Loop: Header=BB0_2 Depth=1
	v_cvt_f32_u32_e32 v4, s24
	s_sub_i32 s1, 0, s24
	v_mov_b32_e32 v101, v3
	v_rcp_iflag_f32_e32 v4, v4
	v_mul_f32_e32 v4, 0x4f7ffffe, v4
	v_cvt_u32_f32_e32 v4, v4
	v_mul_lo_u32 v7, s1, v4
	v_mul_hi_u32 v7, v4, v7
	v_add_nc_u32_e32 v4, v4, v7
	v_mul_hi_u32 v4, v5, v4
	v_mul_lo_u32 v7, v4, s24
	v_add_nc_u32_e32 v8, 1, v4
	v_sub_nc_u32_e32 v7, v5, v7
	v_subrev_nc_u32_e32 v9, s24, v7
	v_cmp_le_u32_e32 vcc_lo, s24, v7
	v_cndmask_b32_e32 v7, v7, v9, vcc_lo
	v_cndmask_b32_e32 v4, v4, v8, vcc_lo
	v_cmp_le_u32_e32 vcc_lo, s24, v7
	v_add_nc_u32_e32 v8, 1, v4
	v_cndmask_b32_e32 v100, v4, v8, vcc_lo
.LBB0_6:                                ;   in Loop: Header=BB0_2 Depth=1
	s_or_b32 exec_lo, exec_lo, s0
	v_mul_lo_u32 v4, v101, s24
	v_mul_lo_u32 v9, v100, s25
	s_load_dwordx2 s[0:1], s[6:7], 0x0
	v_mad_u64_u32 v[7:8], null, v100, s24, 0
	s_load_dwordx2 s[24:25], s[2:3], 0x0
	s_add_u32 s22, s22, 1
	s_addc_u32 s23, s23, 0
	s_add_u32 s2, s2, 8
	s_addc_u32 s3, s3, 0
	s_add_u32 s6, s6, 8
	v_add3_u32 v4, v8, v9, v4
	v_sub_co_u32 v5, vcc_lo, v5, v7
	s_addc_u32 s7, s7, 0
	s_add_u32 s20, s20, 8
	v_sub_co_ci_u32_e32 v4, vcc_lo, v6, v4, vcc_lo
	s_addc_u32 s21, s21, 0
	s_waitcnt lgkmcnt(0)
	v_mul_lo_u32 v6, s0, v4
	v_mul_lo_u32 v7, s1, v5
	v_mad_u64_u32 v[1:2], null, s0, v5, v[1:2]
	v_mul_lo_u32 v4, s24, v4
	v_mul_lo_u32 v8, s25, v5
	v_mad_u64_u32 v[98:99], null, s24, v5, v[98:99]
	v_cmp_ge_u64_e64 s0, s[22:23], s[14:15]
	v_add3_u32 v2, v7, v2, v6
	v_add3_u32 v99, v8, v99, v4
	s_and_b32 vcc_lo, exec_lo, s0
	s_cbranch_vccnz .LBB0_9
; %bb.7:                                ;   in Loop: Header=BB0_2 Depth=1
	v_mov_b32_e32 v5, v100
	v_mov_b32_e32 v6, v101
	s_branch .LBB0_2
.LBB0_8:
	v_mov_b32_e32 v99, v2
	v_mov_b32_e32 v101, v6
	;; [unrolled: 1-line block ×4, first 2 shown]
.LBB0_9:
	s_load_dwordx2 s[0:1], s[4:5], 0x28
	v_mul_hi_u32 v3, 0x199999a, v0
	s_lshl_b64 s[4:5], s[14:15], 3
                                        ; implicit-def: $vgpr96
                                        ; implicit-def: $vgpr102
                                        ; implicit-def: $vgpr118
                                        ; implicit-def: $vgpr114
                                        ; implicit-def: $vgpr110
                                        ; implicit-def: $vgpr108
                                        ; implicit-def: $vgpr112
                                        ; implicit-def: $vgpr116
                                        ; implicit-def: $vgpr104
                                        ; implicit-def: $vgpr106
	s_add_u32 s2, s18, s4
	s_addc_u32 s3, s19, s5
	s_waitcnt lgkmcnt(0)
	v_cmp_gt_u64_e32 vcc_lo, s[0:1], v[100:101]
	v_cmp_le_u64_e64 s0, s[0:1], v[100:101]
	s_and_saveexec_b32 s1, s0
	s_xor_b32 s0, exec_lo, s1
	s_cbranch_execz .LBB0_11
; %bb.10:
	v_mul_u32_u24_e32 v1, 0xa0, v3
	v_mov_b32_e32 v97, 0
                                        ; implicit-def: $vgpr3
	v_sub_nc_u32_e32 v96, v0, v1
	v_mov_b32_e32 v103, v97
	v_mov_b32_e32 v119, v97
	;; [unrolled: 1-line block ×4, first 2 shown]
	v_add_nc_u32_e32 v102, 0xa0, v96
	v_add_nc_u32_e32 v118, 0x140, v96
	;; [unrolled: 1-line block ×4, first 2 shown]
	v_or_b32_e32 v108, 0x500, v96
	v_add_nc_u32_e32 v112, 0x320, v96
	v_add_nc_u32_e32 v116, 0x1e0, v96
	;; [unrolled: 1-line block ×4, first 2 shown]
	v_mov_b32_e32 v113, v97
	v_mov_b32_e32 v111, v97
	;; [unrolled: 1-line block ×5, first 2 shown]
                                        ; implicit-def: $vgpr0
                                        ; implicit-def: $vgpr1_vgpr2
.LBB0_11:
	s_andn2_saveexec_b32 s1, s0
	s_cbranch_execz .LBB0_13
; %bb.12:
	s_add_u32 s4, s16, s4
	s_addc_u32 s5, s17, s5
	v_mul_u32_u24_e32 v3, 0xa0, v3
	s_load_dwordx2 s[4:5], s[4:5], 0x0
	v_mov_b32_e32 v97, 0
	v_sub_nc_u32_e32 v96, v0, v3
	v_lshlrev_b64 v[0:1], 4, v[1:2]
	v_mov_b32_e32 v103, v97
	v_mov_b32_e32 v119, v97
	;; [unrolled: 1-line block ×3, first 2 shown]
	v_lshlrev_b32_e32 v80, 4, v96
	v_or_b32_e32 v108, 0x500, v96
	v_mov_b32_e32 v115, v97
	v_mov_b32_e32 v113, v97
	;; [unrolled: 1-line block ×6, first 2 shown]
	v_add_nc_u32_e32 v102, 0xa0, v96
	v_add_nc_u32_e32 v118, 0x140, v96
	;; [unrolled: 1-line block ×3, first 2 shown]
	s_waitcnt lgkmcnt(0)
	v_mul_lo_u32 v6, s5, v100
	v_mul_lo_u32 v7, s4, v101
	v_mad_u64_u32 v[4:5], null, s4, v100, 0
	v_add_nc_u32_e32 v114, 0x280, v96
	v_add_nc_u32_e32 v112, 0x320, v96
	v_add_nc_u32_e32 v110, 0x3c0, v96
	v_add_nc_u32_e32 v104, 0x460, v96
	v_add_nc_u32_e32 v106, 0x5a0, v96
	v_add3_u32 v5, v5, v7, v6
	v_lshlrev_b64 v[3:4], 4, v[4:5]
	v_add_co_u32 v2, s0, s8, v3
	v_add_co_ci_u32_e64 v3, s0, s9, v4, s0
	v_lshlrev_b32_e32 v4, 4, v108
	v_add_co_u32 v2, s0, v2, v0
	v_add_co_ci_u32_e64 v3, s0, v3, v1, s0
	v_or_b32_e32 v0, 0xa000, v80
	v_add_co_u32 v44, s0, v2, v80
	v_add_co_ci_u32_e64 v45, s0, 0, v3, s0
	v_add_co_u32 v0, s0, v2, v0
	v_add_co_ci_u32_e64 v1, s0, 0, v3, s0
	;; [unrolled: 2-line block ×20, first 2 shown]
	s_clause 0x13
	global_load_dwordx4 v[0:3], v[0:1], off
	global_load_dwordx4 v[4:7], v[44:45], off
	global_load_dwordx4 v[8:11], v[8:9], off offset:512
	global_load_dwordx4 v[12:15], v[12:13], off offset:1024
	global_load_dwordx4 v[16:19], v[16:17], off offset:1536
	global_load_dwordx4 v[20:23], v[20:21], off
	global_load_dwordx4 v[24:27], v[24:25], off offset:512
	global_load_dwordx4 v[28:31], v[28:29], off
	global_load_dwordx4 v[32:35], v[32:33], off offset:512
	global_load_dwordx4 v[36:39], v[36:37], off offset:1024
	;; [unrolled: 1-line block ×5, first 2 shown]
	global_load_dwordx4 v[52:55], v[52:53], off
	global_load_dwordx4 v[56:59], v[56:57], off offset:512
	global_load_dwordx4 v[60:63], v[60:61], off offset:1024
	;; [unrolled: 1-line block ×6, first 2 shown]
	v_add_nc_u32_e32 v80, 0, v80
	s_waitcnt vmcnt(18)
	ds_write_b128 v80, v[4:7]
	s_waitcnt vmcnt(14)
	ds_write_b128 v80, v[20:23] offset:20480
	ds_write_b128 v80, v[0:3] offset:40960
	;; [unrolled: 1-line block ×5, first 2 shown]
	s_waitcnt vmcnt(12)
	ds_write_b128 v80, v[28:31] offset:10240
	s_waitcnt vmcnt(11)
	ds_write_b128 v80, v[32:35] offset:12800
	;; [unrolled: 2-line block ×4, first 2 shown]
	ds_write_b128 v80, v[24:27] offset:23040
	s_waitcnt vmcnt(8)
	ds_write_b128 v80, v[44:47] offset:25600
	s_waitcnt vmcnt(7)
	;; [unrolled: 2-line block ×9, first 2 shown]
	ds_write_b128 v80, v[76:79] offset:48640
.LBB0_13:
	s_or_b32 exec_lo, exec_lo, s1
	v_lshlrev_b32_e32 v123, 4, v96
	s_load_dwordx2 s[2:3], s[2:3], 0x0
	s_waitcnt lgkmcnt(0)
	s_barrier
	buffer_gl0_inv
	v_add_nc_u32_e32 v122, 0, v123
	s_mov_b32 s16, 0x134454ff
	s_mov_b32 s17, 0xbfee6f0e
	;; [unrolled: 1-line block ×4, first 2 shown]
	ds_read_b128 v[0:3], v122 offset:35840
	ds_read_b128 v[20:23], v122 offset:25600
	;; [unrolled: 1-line block ×9, first 2 shown]
	ds_read_b128 v[60:63], v122
	ds_read_b128 v[64:67], v122 offset:10240
	ds_read_b128 v[68:71], v122 offset:30720
	;; [unrolled: 1-line block ×4, first 2 shown]
	s_mov_b32 s8, 0x4755a5e
	s_mov_b32 s9, 0xbfe2cf23
	;; [unrolled: 1-line block ×6, first 2 shown]
	ds_read_b128 v[48:51], v122 offset:7680
	ds_read_b128 v[16:19], v122 offset:48640
	;; [unrolled: 1-line block ×6, first 2 shown]
	s_mov_b32 s14, 0x9b97f4a8
	s_mov_b32 s15, 0x3fe9e377
	;; [unrolled: 1-line block ×6, first 2 shown]
	s_waitcnt lgkmcnt(18)
	v_add_f64 v[80:81], v[22:23], v[2:3]
	v_add_f64 v[82:83], v[20:21], v[0:1]
	s_waitcnt lgkmcnt(16)
	v_add_f64 v[84:85], v[54:55], v[6:7]
	v_add_f64 v[86:87], v[54:55], -v[6:7]
	v_add_f64 v[88:89], v[52:53], -v[4:5]
	;; [unrolled: 1-line block ×3, first 2 shown]
	v_add_f64 v[92:93], v[52:53], v[4:5]
	s_waitcnt lgkmcnt(7)
	v_add_f64 v[124:125], v[72:73], v[68:69]
	s_waitcnt lgkmcnt(6)
	v_add_f64 v[128:129], v[64:65], v[76:77]
	v_add_f64 v[132:133], v[74:75], v[70:71]
	;; [unrolled: 1-line block ×3, first 2 shown]
	v_add_f64 v[142:143], v[22:23], -v[2:3]
	v_add_f64 v[144:145], v[52:53], -v[20:21]
	;; [unrolled: 1-line block ×7, first 2 shown]
	v_add_f64 v[94:95], v[60:61], v[64:65]
	v_add_f64 v[120:121], v[62:63], v[66:67]
	v_add_f64 v[126:127], v[74:75], -v[70:71]
	v_add_f64 v[130:131], v[64:65], -v[72:73]
	v_fma_f64 v[80:81], v[80:81], -0.5, v[58:59]
	v_fma_f64 v[82:83], v[82:83], -0.5, v[56:57]
	v_fma_f64 v[84:85], v[84:85], -0.5, v[58:59]
	v_add_f64 v[134:135], v[72:73], -v[64:65]
	v_add_f64 v[138:139], v[66:67], -v[74:75]
	;; [unrolled: 1-line block ×3, first 2 shown]
	v_fma_f64 v[92:93], v[92:93], -0.5, v[56:57]
	v_add_f64 v[66:67], v[66:67], -v[78:79]
	v_add_f64 v[64:65], v[64:65], -v[76:77]
	;; [unrolled: 1-line block ×4, first 2 shown]
	v_add_f64 v[56:57], v[56:57], v[52:53]
	v_add_f64 v[54:55], v[58:59], v[54:55]
	v_add_f64 v[58:59], v[78:79], -v[70:71]
	v_add_f64 v[52:53], v[20:21], -v[52:53]
	;; [unrolled: 1-line block ×3, first 2 shown]
	v_fma_f64 v[124:125], v[124:125], -0.5, v[60:61]
	v_fma_f64 v[60:61], v[128:129], -0.5, v[60:61]
	;; [unrolled: 1-line block ×4, first 2 shown]
	v_add_f64 v[132:133], v[144:145], v[146:147]
	v_add_f64 v[136:137], v[148:149], v[152:153]
	v_fma_f64 v[154:155], v[88:89], s[6:7], v[80:81]
	v_fma_f64 v[156:157], v[86:87], s[16:17], v[82:83]
	;; [unrolled: 1-line block ×5, first 2 shown]
	v_add_f64 v[148:149], v[150:151], v[158:159]
	v_fma_f64 v[150:151], v[142:143], s[6:7], v[92:93]
	v_fma_f64 v[92:93], v[142:143], s[16:17], v[92:93]
	v_add_f64 v[72:73], v[94:95], v[72:73]
	v_add_f64 v[74:75], v[120:121], v[74:75]
	v_add_f64 v[158:159], v[26:27], -v[34:35]
	v_add_f64 v[20:21], v[56:57], v[20:21]
	v_add_f64 v[22:23], v[54:55], v[22:23]
	v_add_f64 v[54:55], v[130:131], v[164:165]
	v_add_f64 v[56:57], v[138:139], v[58:59]
	v_add_f64 v[52:53], v[52:53], v[166:167]
	v_fma_f64 v[58:59], v[86:87], s[6:7], v[82:83]
	v_fma_f64 v[82:83], v[66:67], s[16:17], v[124:125]
	;; [unrolled: 1-line block ×10, first 2 shown]
	v_add_f64 v[154:155], v[68:69], -v[76:77]
	v_add_f64 v[156:157], v[70:71], -v[78:79]
	v_fma_f64 v[80:81], v[90:91], s[8:9], v[80:81]
	v_fma_f64 v[90:91], v[64:65], s[6:7], v[128:129]
	v_add_f64 v[68:69], v[72:73], v[68:69]
	v_add_f64 v[70:71], v[74:75], v[70:71]
	s_waitcnt lgkmcnt(0)
	v_add_f64 v[88:89], v[40:41], v[24:25]
	v_add_f64 v[0:1], v[20:21], v[0:1]
	;; [unrolled: 1-line block ×3, first 2 shown]
	s_barrier
	buffer_gl0_inv
	v_fma_f64 v[20:21], v[142:143], s[4:5], v[58:59]
	v_fma_f64 v[22:23], v[126:127], s[8:9], v[82:83]
	v_mov_b32_e32 v184, 0x640
	v_fma_f64 v[60:61], v[66:67], s[4:5], v[60:61]
	v_fma_f64 v[62:63], v[64:65], s[8:9], v[62:63]
	;; [unrolled: 1-line block ×8, first 2 shown]
	v_add_f64 v[134:135], v[134:135], v[154:155]
	v_fma_f64 v[92:93], v[66:67], s[6:7], v[124:125]
	v_fma_f64 v[124:125], v[64:65], s[16:17], v[128:129]
	v_add_f64 v[72:73], v[140:141], v[156:157]
	v_fma_f64 v[58:59], v[136:137], s[0:1], v[80:81]
	v_fma_f64 v[74:75], v[162:163], s[4:5], v[90:91]
	;; [unrolled: 1-line block ×4, first 2 shown]
	v_add_f64 v[68:69], v[68:69], v[76:77]
	v_add_f64 v[70:71], v[70:71], v[78:79]
	;; [unrolled: 1-line block ×4, first 2 shown]
	v_fma_f64 v[4:5], v[132:133], s[0:1], v[20:21]
	v_fma_f64 v[6:7], v[54:55], s[0:1], v[22:23]
	v_add_f64 v[148:149], v[38:39], -v[46:47]
	v_add_f64 v[150:151], v[30:31], -v[18:19]
	v_mul_f64 v[82:83], v[120:121], s[8:9]
	v_mul_f64 v[90:91], v[130:131], s[4:5]
	v_fma_f64 v[128:129], v[52:53], s[0:1], v[144:145]
	v_mul_f64 v[136:137], v[146:147], s[16:17]
	v_mul_f64 v[138:139], v[146:147], s[0:1]
	v_fma_f64 v[52:53], v[52:53], s[0:1], v[86:87]
	v_mul_f64 v[66:67], v[84:85], s[16:17]
	v_fma_f64 v[64:65], v[126:127], s[4:5], v[92:93]
	v_fma_f64 v[86:87], v[162:163], s[8:9], v[124:125]
	v_mul_f64 v[76:77], v[84:85], s[18:19]
	v_mul_f64 v[20:21], v[58:59], s[8:9]
	;; [unrolled: 1-line block ×3, first 2 shown]
	v_fma_f64 v[74:75], v[56:57], s[0:1], v[74:75]
	v_fma_f64 v[80:81], v[134:135], s[0:1], v[80:81]
	;; [unrolled: 1-line block ×3, first 2 shown]
	v_add_f64 v[126:127], v[36:37], v[28:29]
	v_add_f64 v[94:95], v[42:43], v[26:27]
	v_fma_f64 v[72:73], v[72:73], s[0:1], v[62:63]
	v_add_f64 v[58:59], v[70:71], -v[2:3]
	v_add_f64 v[144:145], v[24:25], v[12:13]
	v_add_f64 v[146:147], v[26:27], v[14:15]
	v_add_f64 v[154:155], v[24:25], -v[32:33]
	v_fma_f64 v[78:79], v[130:131], s[14:15], v[82:83]
	v_fma_f64 v[82:83], v[120:121], s[14:15], v[90:91]
	;; [unrolled: 1-line block ×5, first 2 shown]
	v_add_f64 v[128:129], v[38:39], v[30:31]
	v_fma_f64 v[124:125], v[52:53], s[18:19], v[66:67]
	v_add_f64 v[130:131], v[46:47], v[18:19]
	v_fma_f64 v[132:133], v[54:55], s[0:1], v[64:65]
	v_fma_f64 v[76:77], v[52:53], s[6:7], v[76:77]
	;; [unrolled: 1-line block ×3, first 2 shown]
	v_add_f64 v[52:53], v[68:69], v[0:1]
	v_add_f64 v[54:55], v[70:71], v[2:3]
	v_add_f64 v[56:57], v[68:69], -v[0:1]
	v_fma_f64 v[134:135], v[4:5], s[20:21], v[20:21]
	v_fma_f64 v[136:137], v[4:5], s[4:5], v[22:23]
	v_add_f64 v[138:139], v[38:39], -v[30:31]
	v_add_f64 v[156:157], v[32:33], -v[24:25]
	;; [unrolled: 1-line block ×3, first 2 shown]
	v_add_f64 v[60:61], v[6:7], v[78:79]
	v_add_f64 v[62:63], v[74:75], v[82:83]
	v_add_f64 v[4:5], v[6:7], -v[78:79]
	v_add_f64 v[6:7], v[74:75], -v[82:83]
	v_add_f64 v[64:65], v[80:81], v[90:91]
	v_add_f64 v[66:67], v[84:85], v[92:93]
	v_add_f64 v[0:1], v[80:81], -v[90:91]
	v_add_f64 v[2:3], v[84:85], -v[92:93]
	v_add_f64 v[20:21], v[120:121], v[124:125]
	v_add_f64 v[80:81], v[46:47], -v[18:19]
	v_add_f64 v[82:83], v[44:45], -v[16:17]
	v_fma_f64 v[84:85], v[128:129], -0.5, v[50:51]
	v_fma_f64 v[90:91], v[126:127], -0.5, v[48:49]
	v_add_f64 v[68:69], v[120:121], -v[124:125]
	v_add_f64 v[92:93], v[44:45], v[16:17]
	v_add_f64 v[120:121], v[36:37], -v[28:29]
	v_fma_f64 v[124:125], v[130:131], -0.5, v[50:51]
	v_add_f64 v[22:23], v[72:73], v[76:77]
	v_add_f64 v[70:71], v[72:73], -v[76:77]
	v_add_f64 v[72:73], v[132:133], v[134:135]
	v_add_f64 v[74:75], v[86:87], v[136:137]
	v_add_f64 v[76:77], v[132:133], -v[134:135]
	v_add_f64 v[78:79], v[86:87], -v[136:137]
	v_add_f64 v[86:87], v[88:89], v[32:33]
	v_add_f64 v[88:89], v[94:95], v[34:35]
	;; [unrolled: 1-line block ×4, first 2 shown]
	v_add_f64 v[130:131], v[44:45], -v[36:37]
	v_add_f64 v[132:133], v[16:17], -v[28:29]
	;; [unrolled: 1-line block ×4, first 2 shown]
	v_add_f64 v[46:47], v[50:51], v[46:47]
	v_add_f64 v[126:127], v[34:35], -v[10:11]
	v_fma_f64 v[140:141], v[82:83], s[6:7], v[84:85]
	v_fma_f64 v[142:143], v[80:81], s[16:17], v[90:91]
	;; [unrolled: 1-line block ×3, first 2 shown]
	v_fma_f64 v[92:93], v[92:93], -0.5, v[48:49]
	v_add_f64 v[48:49], v[48:49], v[44:45]
	v_fma_f64 v[152:153], v[120:121], s[16:17], v[124:125]
	v_fma_f64 v[124:125], v[120:121], s[6:7], v[124:125]
	v_add_f64 v[34:35], v[34:35], -v[26:27]
	v_add_f64 v[26:27], v[26:27], -v[14:15]
	;; [unrolled: 1-line block ×4, first 2 shown]
	v_add_f64 v[86:87], v[86:87], v[8:9]
	v_add_f64 v[88:89], v[88:89], v[10:11]
	v_fma_f64 v[50:51], v[94:95], -0.5, v[40:41]
	v_fma_f64 v[128:129], v[128:129], -0.5, v[42:43]
	v_fma_f64 v[40:41], v[144:145], -0.5, v[40:41]
	v_add_f64 v[94:95], v[130:131], v[132:133]
	v_fma_f64 v[42:43], v[146:147], -0.5, v[42:43]
	v_add_f64 v[130:131], v[134:135], v[136:137]
	v_add_f64 v[136:137], v[28:29], -v[16:17]
	v_add_f64 v[38:39], v[46:47], v[38:39]
	v_fma_f64 v[132:133], v[120:121], s[4:5], v[140:141]
	v_fma_f64 v[134:135], v[138:139], s[8:9], v[142:143]
	v_add_f64 v[140:141], v[148:149], v[150:151]
	v_fma_f64 v[142:143], v[138:139], s[6:7], v[92:93]
	v_fma_f64 v[92:93], v[138:139], s[16:17], v[92:93]
	;; [unrolled: 1-line block ×3, first 2 shown]
	v_add_f64 v[36:37], v[48:49], v[36:37]
	v_fma_f64 v[48:49], v[82:83], s[8:9], v[124:125]
	v_fma_f64 v[82:83], v[80:81], s[6:7], v[90:91]
	;; [unrolled: 1-line block ×3, first 2 shown]
	v_add_f64 v[46:47], v[12:13], -v[8:9]
	v_add_f64 v[90:91], v[14:15], -v[10:11]
	;; [unrolled: 1-line block ×4, first 2 shown]
	v_add_f64 v[12:13], v[86:87], v[12:13]
	v_add_f64 v[14:15], v[88:89], v[14:15]
	v_fma_f64 v[144:145], v[126:127], s[6:7], v[40:41]
	v_fma_f64 v[40:41], v[126:127], s[16:17], v[40:41]
	v_add_f64 v[44:45], v[44:45], v[136:137]
	v_add_f64 v[30:31], v[38:39], v[30:31]
	v_fma_f64 v[120:121], v[130:131], s[0:1], v[132:133]
	v_fma_f64 v[124:125], v[94:95], s[0:1], v[134:135]
	;; [unrolled: 1-line block ×6, first 2 shown]
	v_add_f64 v[28:29], v[36:37], v[28:29]
	v_fma_f64 v[36:37], v[140:141], s[0:1], v[48:49]
	v_fma_f64 v[38:39], v[26:27], s[6:7], v[50:51]
	;; [unrolled: 1-line block ×8, first 2 shown]
	v_add_f64 v[46:47], v[154:155], v[46:47]
	v_add_f64 v[84:85], v[158:159], v[90:91]
	;; [unrolled: 1-line block ×3, first 2 shown]
	v_fma_f64 v[138:139], v[26:27], s[8:9], v[144:145]
	v_fma_f64 v[26:27], v[26:27], s[4:5], v[40:41]
	v_add_f64 v[8:9], v[156:157], v[8:9]
	v_add_f64 v[18:19], v[30:31], v[18:19]
	v_mul_f64 v[90:91], v[120:121], s[8:9]
	v_mul_f64 v[128:129], v[124:125], s[4:5]
	v_fma_f64 v[130:131], v[126:127], s[8:9], v[132:133]
	v_fma_f64 v[132:133], v[32:33], s[4:5], v[134:135]
	;; [unrolled: 1-line block ×4, first 2 shown]
	v_add_f64 v[16:17], v[28:29], v[16:17]
	v_mad_u32_u24 v140, 0x90, v96, v122
	v_fma_f64 v[38:39], v[126:127], s[4:5], v[38:39]
	v_fma_f64 v[32:33], v[32:33], s[8:9], v[48:49]
	v_fma_f64 v[44:45], v[94:95], s[0:1], v[50:51]
	v_mul_f64 v[48:49], v[82:83], s[8:9]
	v_mul_f64 v[50:51], v[82:83], s[20:21]
	;; [unrolled: 1-line block ×4, first 2 shown]
	v_fma_f64 v[92:93], v[24:25], s[4:5], v[92:93]
	v_fma_f64 v[24:25], v[24:25], s[8:9], v[42:43]
	v_mul_f64 v[42:43], v[36:37], s[16:17]
	v_mul_f64 v[36:37], v[36:37], s[18:19]
	ds_write_b128 v140, v[52:55]
	ds_write_b128 v140, v[56:59] offset:80
	ds_write_b128 v140, v[60:63] offset:16
	;; [unrolled: 1-line block ×3, first 2 shown]
	v_fma_f64 v[88:89], v[8:9], s[0:1], v[138:139]
	v_mul_i32_i24_e32 v53, 10, v102
	v_fma_f64 v[28:29], v[124:125], s[14:15], v[90:91]
	v_fma_f64 v[30:31], v[120:121], s[14:15], v[128:129]
	;; [unrolled: 1-line block ×4, first 2 shown]
	ds_write_b128 v140, v[20:23] offset:48
	ds_write_b128 v140, v[72:75] offset:64
	;; [unrolled: 1-line block ×3, first 2 shown]
	v_lshl_add_u32 v128, v118, 4, 0
	v_fma_f64 v[126:127], v[46:47], s[0:1], v[38:39]
	v_fma_f64 v[84:85], v[84:85], s[0:1], v[32:33]
	v_and_b32_e32 v46, 0xff, v96
	v_fma_f64 v[48:49], v[44:45], s[20:21], v[48:49]
	v_fma_f64 v[50:51], v[44:45], s[4:5], v[50:51]
	;; [unrolled: 1-line block ×9, first 2 shown]
	v_add_f64 v[8:9], v[12:13], v[16:17]
	v_add_f64 v[10:11], v[14:15], v[18:19]
	v_mul_lo_u16 v52, 0xcd, v46
	v_add_f64 v[12:13], v[12:13], -v[16:17]
	v_add_f64 v[14:15], v[14:15], -v[18:19]
	v_add_f64 v[16:17], v[80:81], v[28:29]
	v_add_f64 v[18:19], v[82:83], v[30:31]
	v_lshrrev_b16 v133, 11, v52
	v_add_f64 v[24:25], v[80:81], -v[28:29]
	v_add_f64 v[26:27], v[82:83], -v[30:31]
	v_mul_lo_u16 v4, v133, 10
	v_add_f64 v[40:41], v[126:127], v[48:49]
	v_add_f64 v[42:43], v[84:85], v[50:51]
	v_add_f64 v[48:49], v[126:127], -v[48:49]
	v_add_f64 v[50:51], v[84:85], -v[50:51]
	v_add_f64 v[28:29], v[88:89], v[86:87]
	v_add_f64 v[30:31], v[90:91], v[34:35]
	v_add_f64 v[32:33], v[88:89], -v[86:87]
	v_add_f64 v[34:35], v[90:91], -v[34:35]
	;; [unrolled: 4-line block ×3, first 2 shown]
	v_lshl_add_u32 v126, v53, 4, 0
	ds_write_b128 v140, v[0:3] offset:112
	ds_write_b128 v140, v[68:71] offset:128
	;; [unrolled: 1-line block ×3, first 2 shown]
	ds_write_b128 v126, v[8:11]
	v_sub_nc_u16 v130, v96, v4
	v_mov_b32_e32 v0, 9
	ds_write_b128 v126, v[16:19] offset:16
	ds_write_b128 v126, v[28:31] offset:32
	;; [unrolled: 1-line block ×4, first 2 shown]
	v_mul_u32_u24_sdwa v1, v130, v0 dst_sel:DWORD dst_unused:UNUSED_PAD src0_sel:BYTE_0 src1_sel:DWORD
	ds_write_b128 v126, v[12:15] offset:80
	ds_write_b128 v126, v[24:27] offset:96
	;; [unrolled: 1-line block ×5, first 2 shown]
	s_waitcnt lgkmcnt(0)
	s_barrier
	v_lshlrev_b32_e32 v4, 4, v1
	buffer_gl0_inv
	v_mov_b32_e32 v1, 0xcccd
	v_lshl_add_u32 v127, v114, 4, 0
	v_lshl_add_u32 v125, v110, 4, 0
	s_clause 0x1
	global_load_dwordx4 v[60:63], v4, s[12:13]
	global_load_dwordx4 v[56:59], v4, s[12:13] offset:16
	v_mul_u32_u24_sdwa v1, v102, v1 dst_sel:DWORD dst_unused:UNUSED_PAD src0_sel:WORD_0 src1_sel:DWORD
	s_clause 0x4
	global_load_dwordx4 v[52:55], v4, s[12:13] offset:32
	global_load_dwordx4 v[48:51], v4, s[12:13] offset:48
	;; [unrolled: 1-line block ×5, first 2 shown]
	v_lshrrev_b32_e32 v131, 19, v1
	v_lshl_add_u32 v124, v108, 4, 0
	v_mad_i32_i24 v129, 0xffffff70, v102, v126
	v_mul_u32_u24_sdwa v194, v133, v184 dst_sel:DWORD dst_unused:UNUSED_PAD src0_sel:WORD_0 src1_sel:DWORD
	v_mul_lo_u16 v1, v131, 10
	v_sub_nc_u16 v132, v102, v1
	v_mul_u32_u24_sdwa v0, v132, v0 dst_sel:DWORD dst_unused:UNUSED_PAD src0_sel:WORD_0 src1_sel:DWORD
	v_lshlrev_b32_e32 v36, 4, v0
	s_clause 0xa
	global_load_dwordx4 v[64:67], v36, s[12:13] offset:16
	global_load_dwordx4 v[0:3], v4, s[12:13] offset:96
	;; [unrolled: 1-line block ×6, first 2 shown]
	global_load_dwordx4 v[32:35], v36, s[12:13]
	global_load_dwordx4 v[24:27], v36, s[12:13] offset:32
	global_load_dwordx4 v[20:23], v36, s[12:13] offset:64
	;; [unrolled: 1-line block ×4, first 2 shown]
	ds_read_b128 v[92:95], v128
	ds_read_b128 v[88:91], v127
	;; [unrolled: 1-line block ×4, first 2 shown]
	ds_read_b128 v[76:79], v122 offset:25600
	ds_read_b128 v[72:75], v122 offset:30720
	;; [unrolled: 1-line block ×7, first 2 shown]
	ds_read_b128 v[154:157], v129
	ds_read_b128 v[158:161], v122 offset:46080
	ds_read_b128 v[162:165], v122 offset:43520
	;; [unrolled: 1-line block ×3, first 2 shown]
	s_waitcnt vmcnt(17) lgkmcnt(14)
	v_mul_f64 v[120:121], v[94:95], v[62:63]
	v_mul_f64 v[62:63], v[92:93], v[62:63]
	s_waitcnt vmcnt(16) lgkmcnt(13)
	v_mul_f64 v[170:171], v[90:91], v[58:59]
	v_mul_f64 v[172:173], v[88:89], v[58:59]
	;; [unrolled: 3-line block ×3, first 2 shown]
	s_waitcnt vmcnt(14) lgkmcnt(11)
	v_mul_f64 v[178:179], v[82:83], v[50:51]
	s_waitcnt vmcnt(13) lgkmcnt(10)
	v_mul_f64 v[182:183], v[78:79], v[42:43]
	v_mul_f64 v[42:43], v[76:77], v[42:43]
	;; [unrolled: 1-line block ×3, first 2 shown]
	v_fma_f64 v[92:93], v[92:93], v[60:61], v[120:121]
	v_fma_f64 v[94:95], v[94:95], v[60:61], -v[62:63]
	s_waitcnt vmcnt(12) lgkmcnt(9)
	v_mul_f64 v[62:63], v[74:75], v[30:31]
	v_mul_f64 v[30:31], v[72:73], v[30:31]
	v_fma_f64 v[88:89], v[88:89], v[56:57], v[170:171]
	v_fma_f64 v[90:91], v[90:91], v[56:57], -v[172:173]
	s_waitcnt vmcnt(11) lgkmcnt(8)
	v_mul_f64 v[120:121], v[136:137], v[14:15]
	v_mul_f64 v[14:15], v[134:135], v[14:15]
	v_fma_f64 v[170:171], v[84:85], v[52:53], v[174:175]
	v_fma_f64 v[172:173], v[86:87], v[52:53], -v[176:177]
	s_waitcnt vmcnt(10) lgkmcnt(7)
	v_mul_f64 v[174:175], v[140:141], v[66:67]
	v_mul_f64 v[66:67], v[138:139], v[66:67]
	v_fma_f64 v[176:177], v[80:81], v[48:49], v[178:179]
	s_waitcnt vmcnt(9) lgkmcnt(5)
	v_mul_f64 v[178:179], v[148:149], v[2:3]
	v_fma_f64 v[76:77], v[76:77], v[40:41], v[182:183]
	v_fma_f64 v[40:41], v[78:79], v[40:41], -v[42:43]
	s_waitcnt vmcnt(8)
	v_mul_f64 v[42:43], v[144:145], v[70:71]
	v_mul_f64 v[70:71], v[142:143], v[70:71]
	;; [unrolled: 1-line block ×3, first 2 shown]
	s_waitcnt vmcnt(7) lgkmcnt(2)
	v_mul_f64 v[78:79], v[160:161], v[6:7]
	ds_read_b128 v[58:61], v122 offset:7680
	ds_read_b128 v[54:57], v122 offset:38400
	;; [unrolled: 1-line block ×3, first 2 shown]
	v_fma_f64 v[48:49], v[82:83], v[48:49], -v[180:181]
	v_fma_f64 v[72:73], v[72:73], v[28:29], v[62:63]
	v_fma_f64 v[28:29], v[74:75], v[28:29], -v[30:31]
	s_waitcnt vmcnt(6)
	v_mul_f64 v[30:31], v[152:153], v[10:11]
	v_mul_f64 v[10:11], v[150:151], v[10:11]
	ds_read_b128 v[80:83], v122 offset:48640
	ds_read_b128 v[84:87], v122
	v_mul_f64 v[6:7], v[158:159], v[6:7]
	s_waitcnt vmcnt(5) lgkmcnt(6)
	v_mul_f64 v[74:75], v[164:165], v[46:47]
	v_fma_f64 v[120:121], v[134:135], v[12:13], v[120:121]
	v_fma_f64 v[12:13], v[136:137], v[12:13], -v[14:15]
	v_mul_f64 v[14:15], v[162:163], v[46:47]
	v_fma_f64 v[136:137], v[138:139], v[64:65], v[174:175]
	v_fma_f64 v[63:64], v[140:141], v[64:65], -v[66:67]
	s_waitcnt vmcnt(2) lgkmcnt(5)
	v_mul_f64 v[65:66], v[168:169], v[22:23]
	v_mul_f64 v[22:23], v[166:167], v[22:23]
	v_fma_f64 v[42:43], v[142:143], v[68:69], v[42:43]
	v_fma_f64 v[67:68], v[144:145], v[68:69], -v[70:71]
	s_waitcnt lgkmcnt(4)
	v_mul_f64 v[46:47], v[60:61], v[34:35]
	v_mul_f64 v[34:35], v[58:59], v[34:35]
	s_waitcnt lgkmcnt(2)
	v_mul_f64 v[134:135], v[52:53], v[26:27]
	v_mul_f64 v[26:27], v[50:51], v[26:27]
	s_waitcnt vmcnt(1)
	v_mul_f64 v[138:139], v[56:57], v[18:19]
	v_mul_f64 v[18:19], v[54:55], v[18:19]
	v_add_f64 v[144:145], v[176:177], -v[88:89]
	s_waitcnt vmcnt(0) lgkmcnt(1)
	v_mul_f64 v[69:70], v[82:83], v[38:39]
	v_fma_f64 v[30:31], v[150:151], v[8:9], v[30:31]
	v_fma_f64 v[8:9], v[152:153], v[8:9], -v[10:11]
	v_fma_f64 v[10:11], v[146:147], v[0:1], v[178:179]
	v_fma_f64 v[0:1], v[148:149], v[0:1], -v[2:3]
	v_fma_f64 v[2:3], v[158:159], v[4:5], v[78:79]
	v_mul_f64 v[38:39], v[80:81], v[38:39]
	v_fma_f64 v[74:75], v[162:163], v[44:45], v[74:75]
	v_fma_f64 v[44:45], v[164:165], v[44:45], -v[14:15]
	v_fma_f64 v[4:5], v[160:161], v[4:5], -v[6:7]
	v_add_f64 v[150:151], v[72:73], -v[120:121]
	v_add_f64 v[78:79], v[12:13], -v[28:29]
	;; [unrolled: 1-line block ×5, first 2 shown]
	v_fma_f64 v[6:7], v[58:59], v[32:33], v[46:47]
	v_fma_f64 v[14:15], v[60:61], v[32:33], -v[34:35]
	v_fma_f64 v[32:33], v[50:51], v[24:25], v[134:135]
	v_fma_f64 v[24:25], v[52:53], v[24:25], -v[26:27]
	;; [unrolled: 2-line block ×3, first 2 shown]
	v_fma_f64 v[22:23], v[54:55], v[16:17], v[138:139]
	v_fma_f64 v[46:47], v[80:81], v[36:37], v[69:70]
	v_add_f64 v[133:134], v[170:171], -v[76:77]
	v_fma_f64 v[16:17], v[56:57], v[16:17], -v[18:19]
	v_add_f64 v[56:57], v[67:68], v[8:9]
	v_add_f64 v[60:61], v[88:89], -v[176:177]
	v_add_f64 v[138:139], v[2:3], -v[10:11]
	v_fma_f64 v[50:51], v[82:83], v[36:37], -v[38:39]
	v_add_f64 v[65:66], v[120:121], -v[72:73]
	v_add_f64 v[58:59], v[63:64], v[44:45]
	v_add_f64 v[69:70], v[90:91], -v[48:49]
	v_add_f64 v[142:143], v[4:5], -v[0:1]
	;; [unrolled: 1-line block ×6, first 2 shown]
	v_add_f64 v[144:145], v[144:145], v[150:151]
	v_add_f64 v[150:151], v[172:173], v[4:5]
	;; [unrolled: 1-line block ×4, first 2 shown]
	v_add_f64 v[178:179], v[32:33], -v[26:27]
	v_add_f64 v[186:187], v[26:27], -v[32:33]
	v_add_f64 v[52:53], v[42:43], v[30:31]
	v_add_f64 v[180:181], v[46:47], -v[22:23]
	v_add_f64 v[188:189], v[22:23], -v[46:47]
	v_add_f64 v[54:55], v[136:137], v[74:75]
	s_waitcnt lgkmcnt(0)
	v_add_f64 v[80:81], v[84:85], v[88:89]
	v_add_f64 v[82:83], v[86:87], v[90:91]
	;; [unrolled: 1-line block ×5, first 2 shown]
	v_add_f64 v[160:161], v[76:77], -v[170:171]
	v_add_f64 v[162:163], v[10:11], -v[2:3]
	;; [unrolled: 1-line block ×4, first 2 shown]
	v_fma_f64 v[56:57], v[56:57], -0.5, v[156:157]
	v_fma_f64 v[58:59], v[58:59], -0.5, v[156:157]
	v_add_f64 v[156:157], v[76:77], v[10:11]
	v_add_f64 v[60:61], v[60:61], v[65:66]
	;; [unrolled: 1-line block ×6, first 2 shown]
	v_add_f64 v[142:143], v[76:77], -v[10:11]
	v_add_f64 v[152:153], v[152:153], v[158:159]
	v_add_f64 v[158:159], v[94:95], v[172:173]
	;; [unrolled: 1-line block ×8, first 2 shown]
	v_add_f64 v[170:171], v[170:171], -v[2:3]
	v_add_f64 v[186:187], v[186:187], v[188:189]
	v_add_f64 v[188:189], v[20:21], v[16:17]
	v_fma_f64 v[138:139], v[138:139], -0.5, v[94:95]
	v_fma_f64 v[94:95], v[150:151], -0.5, v[94:95]
	v_add_f64 v[36:37], v[48:49], v[28:29]
	v_add_f64 v[38:39], v[90:91], v[12:13]
	;; [unrolled: 1-line block ×3, first 2 shown]
	v_add_f64 v[190:191], v[20:21], -v[24:25]
	v_fma_f64 v[18:19], v[18:19], -0.5, v[84:85]
	v_fma_f64 v[34:35], v[34:35], -0.5, v[84:85]
	v_add_f64 v[84:85], v[16:17], -v[50:51]
	v_fma_f64 v[52:53], v[52:53], -0.5, v[154:155]
	v_fma_f64 v[54:55], v[54:55], -0.5, v[154:155]
	v_add_f64 v[154:155], v[48:49], -v[28:29]
	v_add_f64 v[160:161], v[160:161], v[162:163]
	v_add_f64 v[162:163], v[40:41], -v[0:1]
	v_add_f64 v[182:183], v[182:183], v[184:185]
	v_add_f64 v[184:185], v[26:27], -v[22:23]
	v_add_f64 v[172:173], v[172:173], -v[4:5]
	v_add_f64 v[80:81], v[80:81], v[176:177]
	v_add_f64 v[48:49], v[82:83], v[48:49]
	;; [unrolled: 1-line block ×3, first 2 shown]
	v_add_f64 v[78:79], v[136:137], -v[74:75]
	v_add_f64 v[40:41], v[158:159], v[40:41]
	v_add_f64 v[26:27], v[180:181], v[26:27]
	v_add_f64 v[135:136], v[42:43], -v[136:137]
	v_fma_f64 v[156:157], v[156:157], -0.5, v[92:93]
	v_fma_f64 v[65:66], v[65:66], -0.5, v[92:93]
	;; [unrolled: 1-line block ×3, first 2 shown]
	v_fma_f64 v[166:167], v[170:171], s[6:7], v[138:139]
	v_fma_f64 v[6:7], v[174:175], -0.5, v[6:7]
	v_fma_f64 v[174:175], v[188:189], -0.5, v[14:15]
	v_fma_f64 v[188:189], v[142:143], s[16:17], v[94:95]
	v_fma_f64 v[94:95], v[142:143], s[6:7], v[94:95]
	;; [unrolled: 1-line block ×3, first 2 shown]
	v_fma_f64 v[36:37], v[36:37], -0.5, v[86:87]
	v_fma_f64 v[38:39], v[38:39], -0.5, v[86:87]
	v_add_f64 v[86:87], v[176:177], -v[72:73]
	v_add_f64 v[88:89], v[88:89], -v[120:121]
	;; [unrolled: 1-line block ×3, first 2 shown]
	v_add_f64 v[84:85], v[190:191], v[84:85]
	v_add_f64 v[190:191], v[24:25], v[50:51]
	;; [unrolled: 1-line block ×3, first 2 shown]
	v_add_f64 v[82:83], v[63:64], -v[44:45]
	v_add_f64 v[158:159], v[63:64], -v[67:68]
	;; [unrolled: 1-line block ×4, first 2 shown]
	v_add_f64 v[67:68], v[148:149], v[67:68]
	v_add_f64 v[71:72], v[80:81], v[72:73]
	v_add_f64 v[28:29], v[48:49], v[28:29]
	v_add_f64 v[0:1], v[40:41], v[0:1]
	v_add_f64 v[40:41], v[26:27], v[22:23]
	v_fma_f64 v[22:23], v[154:155], s[6:7], v[34:35]
	v_fma_f64 v[26:27], v[154:155], s[16:17], v[34:35]
	;; [unrolled: 1-line block ×10, first 2 shown]
	v_add_f64 v[32:33], v[32:33], -v[46:47]
	v_add_f64 v[24:25], v[24:25], -v[50:51]
	;; [unrolled: 1-line block ×3, first 2 shown]
	v_fma_f64 v[14:15], v[190:191], -0.5, v[14:15]
	v_add_f64 v[190:191], v[42:43], -v[30:31]
	v_add_f64 v[20:21], v[150:151], v[20:21]
	v_add_f64 v[150:151], v[44:45], -v[8:9]
	v_add_f64 v[42:43], v[146:147], v[42:43]
	v_add_f64 v[148:149], v[8:9], -v[44:45]
	v_add_f64 v[10:11], v[76:77], v[10:11]
	v_fma_f64 v[76:77], v[90:91], s[16:17], v[18:19]
	v_fma_f64 v[18:19], v[90:91], s[6:7], v[18:19]
	;; [unrolled: 1-line block ×6, first 2 shown]
	v_add_f64 v[67:68], v[67:68], v[8:9]
	v_fma_f64 v[8:9], v[162:163], s[8:9], v[34:35]
	v_fma_f64 v[34:35], v[140:141], s[0:1], v[48:49]
	;; [unrolled: 1-line block ×8, first 2 shown]
	v_add_f64 v[146:147], v[30:31], -v[74:75]
	v_fma_f64 v[142:143], v[32:33], s[6:7], v[174:175]
	v_add_f64 v[192:193], v[20:21], v[16:17]
	v_fma_f64 v[16:17], v[184:185], s[16:17], v[14:15]
	v_fma_f64 v[14:15], v[184:185], s[6:7], v[14:15]
	;; [unrolled: 1-line block ×3, first 2 shown]
	v_add_f64 v[42:43], v[42:43], v[30:31]
	v_fma_f64 v[30:31], v[24:25], s[16:17], v[92:93]
	v_add_f64 v[71:72], v[71:72], v[120:121]
	v_add_f64 v[12:13], v[28:29], v[12:13]
	;; [unrolled: 1-line block ×3, first 2 shown]
	v_fma_f64 v[2:3], v[90:91], s[8:9], v[22:23]
	v_fma_f64 v[22:23], v[90:91], s[4:5], v[26:27]
	;; [unrolled: 1-line block ×6, first 2 shown]
	v_mul_f64 v[90:91], v[34:35], s[8:9]
	v_mul_f64 v[34:35], v[34:35], s[14:15]
	v_fma_f64 v[38:39], v[88:89], s[8:9], v[38:39]
	v_fma_f64 v[80:81], v[160:161], s[0:1], v[80:81]
	v_mul_f64 v[88:89], v[166:167], s[16:17]
	v_mul_f64 v[120:121], v[166:167], s[0:1]
	v_fma_f64 v[18:19], v[154:155], s[4:5], v[18:19]
	v_fma_f64 v[65:66], v[160:161], s[0:1], v[65:66]
	;; [unrolled: 4-line block ×4, first 2 shown]
	v_add_f64 v[154:155], v[0:1], v[4:5]
	v_fma_f64 v[141:142], v[184:185], s[4:5], v[142:143]
	v_fma_f64 v[16:17], v[32:33], s[4:5], v[16:17]
	;; [unrolled: 1-line block ×25, first 2 shown]
	v_add_f64 v[0:1], v[71:72], v[10:11]
	v_add_f64 v[2:3], v[12:13], v[154:155]
	v_add_f64 v[4:5], v[71:72], -v[10:11]
	v_add_f64 v[6:7], v[12:13], -v[154:155]
	v_fma_f64 v[71:72], v[182:183], s[0:1], v[141:142]
	v_fma_f64 v[94:95], v[84:85], s[0:1], v[16:17]
	v_add_f64 v[8:9], v[14:15], v[28:29]
	v_add_f64 v[10:11], v[20:21], v[30:31]
	v_add_f64 v[12:13], v[14:15], -v[28:29]
	v_add_f64 v[14:15], v[20:21], -v[30:31]
	v_add_f64 v[16:17], v[32:33], v[34:35]
	v_add_f64 v[18:19], v[26:27], v[76:77]
	v_add_f64 v[20:21], v[32:33], -v[34:35]
	v_add_f64 v[22:23], v[26:27], -v[76:77]
	v_add_f64 v[26:27], v[38:39], v[65:66]
	v_add_f64 v[30:31], v[38:39], -v[65:66]
	v_add_f64 v[32:33], v[60:61], v[36:37]
	v_add_f64 v[36:37], v[60:61], -v[36:37]
	v_fma_f64 v[60:61], v[190:191], s[16:17], v[58:59]
	v_fma_f64 v[54:55], v[180:181], s[16:17], v[54:55]
	v_fma_f64 v[58:59], v[190:191], s[6:7], v[58:59]
	v_fma_f64 v[65:66], v[84:85], s[0:1], v[156:157]
	v_fma_f64 v[172:173], v[82:83], s[16:17], v[52:53]
	v_fma_f64 v[164:165], v[78:79], s[6:7], v[56:57]
	v_add_f64 v[34:35], v[69:70], v[86:87]
	v_add_f64 v[38:39], v[69:70], -v[86:87]
	v_fma_f64 v[69:70], v[176:177], s[4:5], v[92:93]
	v_fma_f64 v[52:53], v[82:83], s[6:7], v[52:53]
	;; [unrolled: 1-line block ×5, first 2 shown]
	v_mul_f64 v[86:87], v[71:72], s[8:9]
	v_mul_f64 v[71:72], v[71:72], s[14:15]
	v_add_f64 v[120:121], v[135:136], v[146:147]
	v_add_f64 v[63:64], v[63:64], v[148:149]
	v_fma_f64 v[48:49], v[186:187], s[0:1], v[48:49]
	v_mul_f64 v[133:134], v[94:95], s[16:17]
	v_mul_f64 v[94:95], v[94:95], s[0:1]
	v_fma_f64 v[135:136], v[82:83], s[8:9], v[162:163]
	v_add_f64 v[24:25], v[80:81], v[88:89]
	v_fma_f64 v[60:61], v[78:79], s[4:5], v[60:61]
	v_fma_f64 v[54:55], v[82:83], s[4:5], v[54:55]
	;; [unrolled: 1-line block ×4, first 2 shown]
	v_mul_f64 v[82:83], v[65:66], s[16:17]
	v_add_f64 v[28:29], v[80:81], -v[88:89]
	v_fma_f64 v[88:89], v[180:181], s[8:9], v[172:173]
	v_mul_f64 v[65:66], v[65:66], s[18:19]
	v_add_f64 v[80:81], v[158:159], v[150:151]
	v_fma_f64 v[92:93], v[190:191], s[4:5], v[164:165]
	v_fma_f64 v[52:53], v[180:181], s[4:5], v[52:53]
	;; [unrolled: 1-line block ×4, first 2 shown]
	v_mul_f64 v[90:91], v[76:77], s[8:9]
	v_mul_f64 v[76:77], v[76:77], s[20:21]
	v_add_f64 v[42:43], v[42:43], v[74:75]
	v_add_f64 v[44:45], v[67:68], v[44:45]
	;; [unrolled: 1-line block ×4, first 2 shown]
	v_mov_b32_e32 v62, 4
	v_fma_f64 v[50:51], v[84:85], s[14:15], v[86:87]
	v_fma_f64 v[67:68], v[84:85], s[4:5], v[71:72]
	;; [unrolled: 1-line block ×4, first 2 shown]
	v_lshlrev_b32_sdwa v73, v62, v130 dst_sel:DWORD dst_unused:UNUSED_PAD src0_sel:DWORD src1_sel:BYTE_0
	v_fma_f64 v[60:61], v[63:64], s[0:1], v[60:61]
	v_fma_f64 v[54:55], v[120:121], s[0:1], v[54:55]
	;; [unrolled: 1-line block ×6, first 2 shown]
	v_add3_u32 v130, 0, v194, v73
	v_fma_f64 v[73:74], v[80:81], s[0:1], v[92:93]
	v_fma_f64 v[86:87], v[120:121], s[0:1], v[135:136]
	;; [unrolled: 1-line block ×6, first 2 shown]
	s_barrier
	buffer_gl0_inv
	ds_write_b128 v130, v[0:3]
	ds_write_b128 v130, v[4:7] offset:800
	ds_write_b128 v130, v[8:11] offset:160
	;; [unrolled: 1-line block ×5, first 2 shown]
	v_add_f64 v[0:1], v[42:43], v[40:41]
	v_add_f64 v[2:3], v[44:45], v[46:47]
	v_add_f64 v[4:5], v[42:43], -v[40:41]
	v_cmp_gt_u32_e64 s0, 0x64, v96
	ds_write_b128 v130, v[12:15] offset:960
	ds_write_b128 v130, v[20:23] offset:1120
	v_add_f64 v[26:27], v[60:61], v[48:49]
	v_add_f64 v[34:35], v[60:61], -v[48:49]
	v_add_f64 v[6:7], v[44:45], -v[46:47]
	v_add_f64 v[40:41], v[54:55], v[63:64]
	v_add_f64 v[48:49], v[54:55], -v[63:64]
	v_mul_u32_u24_e32 v54, 0x640, v131
	v_lshlrev_b32_sdwa v55, v62, v132 dst_sel:DWORD dst_unused:UNUSED_PAD src0_sel:DWORD src1_sel:WORD_0
	v_add_f64 v[8:9], v[71:72], v[50:51]
	v_add_f64 v[16:17], v[71:72], -v[50:51]
	v_add_f64 v[42:43], v[58:59], v[65:66]
	v_add_f64 v[50:51], v[58:59], -v[65:66]
	v_add_nc_u32_e32 v58, 0xffffff9c, v96
	v_add3_u32 v20, 0, v54, v55
	v_add_f64 v[10:11], v[73:74], v[67:68]
	v_add_f64 v[24:25], v[86:87], v[84:85]
	v_add_f64 v[18:19], v[73:74], -v[67:68]
	v_add_f64 v[32:33], v[86:87], -v[84:85]
	v_add_f64 v[44:45], v[52:53], v[78:79]
	v_add_f64 v[46:47], v[56:57], v[69:70]
	v_cndmask_b32_e64 v64, v58, v96, s0
	ds_write_b128 v130, v[28:31] offset:1280
	ds_write_b128 v130, v[36:39] offset:1440
	ds_write_b128 v20, v[0:3]
	v_lshrrev_b16 v2, 2, v102
	v_mov_b32_e32 v3, 0x147b
	v_mov_b32_e32 v61, 0
	v_mul_i32_i24_e32 v60, 3, v64
	v_add_f64 v[12:13], v[52:53], -v[78:79]
	v_add_f64 v[14:15], v[56:57], -v[69:70]
	v_mul_u32_u24_sdwa v2, v2, v3 dst_sel:DWORD dst_unused:UNUSED_PAD src0_sel:WORD_0 src1_sel:DWORD
	v_lshl_add_u32 v80, v112, 4, 0
	v_lshlrev_b64 v[0:1], 4, v[60:61]
	v_lshlrev_b32_e32 v88, 4, v64
	v_lshl_add_u32 v81, v116, 4, 0
	v_lshrrev_b32_e32 v60, 17, v2
	v_mul_u32_u24_e32 v71, 3, v96
	v_add_nc_u32_e32 v82, 0xffffffb0, v96
	ds_write_b128 v20, v[8:11] offset:160
	ds_write_b128 v20, v[24:27] offset:320
	;; [unrolled: 1-line block ×4, first 2 shown]
	v_mul_lo_u16 v2, 0x64, v60
	ds_write_b128 v20, v[4:7] offset:800
	ds_write_b128 v20, v[16:19] offset:960
	;; [unrolled: 1-line block ×4, first 2 shown]
	v_lshrrev_b16 v4, 2, v118
	v_mov_b32_e32 v5, 3
	v_add_co_u32 v0, s0, s12, v0
	v_sub_nc_u16 v63, v102, v2
	v_mul_u32_u24_sdwa v2, v4, v3 dst_sel:DWORD dst_unused:UNUSED_PAD src0_sel:WORD_0 src1_sel:DWORD
	v_add_co_ci_u32_e64 v1, s0, s13, v1, s0
	v_lshrrev_b16 v6, 2, v116
	v_mul_u32_u24_sdwa v4, v63, v5 dst_sel:DWORD dst_unused:UNUSED_PAD src0_sel:WORD_0 src1_sel:DWORD
	v_lshrrev_b32_e32 v68, 17, v2
	ds_write_b128 v20, v[12:15] offset:1440
	s_waitcnt lgkmcnt(0)
	s_barrier
	v_lshlrev_b32_e32 v2, 4, v4
	buffer_gl0_inv
	s_clause 0x2
	global_load_dwordx4 v[28:31], v[0:1], off offset:1440
	global_load_dwordx4 v[24:27], v[0:1], off offset:1456
	;; [unrolled: 1-line block ×3, first 2 shown]
	v_mul_u32_u24_sdwa v4, v6, v3 dst_sel:DWORD dst_unused:UNUSED_PAD src0_sel:WORD_0 src1_sel:DWORD
	global_load_dwordx4 v[48:51], v2, s[12:13] offset:1472
	v_mul_lo_u16 v0, 0x64, v68
	v_lshrrev_b16 v1, 2, v114
	s_clause 0x1
	global_load_dwordx4 v[40:43], v2, s[12:13] offset:1440
	global_load_dwordx4 v[52:55], v2, s[12:13] offset:1456
	v_lshrrev_b32_e32 v69, 17, v4
	v_sub_nc_u16 v67, v118, v0
	v_mul_u32_u24_sdwa v1, v1, v3 dst_sel:DWORD dst_unused:UNUSED_PAD src0_sel:WORD_0 src1_sel:DWORD
	v_cmp_lt_u32_e64 s0, 0x63, v96
	v_mul_u32_u24_e32 v183, 0x1900, v68
	v_mul_lo_u16 v0, 0x64, v69
	v_mul_u32_u24_sdwa v3, v67, v5 dst_sel:DWORD dst_unused:UNUSED_PAD src0_sel:WORD_0 src1_sel:DWORD
	v_lshrrev_b32_e32 v70, 17, v1
	v_cndmask_b32_e64 v87, 0, 0x1900, s0
	v_mul_u32_u24_e32 v184, 0x1900, v69
	v_sub_nc_u16 v65, v116, v0
	v_lshlrev_b32_e32 v0, 4, v3
	s_clause 0x1
	global_load_dwordx4 v[56:59], v0, s[12:13] offset:1440
	global_load_dwordx4 v[16:19], v0, s[12:13] offset:1456
	v_mul_lo_u16 v2, 0x64, v70
	v_mul_u32_u24_sdwa v1, v65, v5 dst_sel:DWORD dst_unused:UNUSED_PAD src0_sel:WORD_0 src1_sel:DWORD
	v_add3_u32 v95, 0, v87, v88
	v_mul_u32_u24_e32 v185, 0x1900, v70
	v_mul_u32_u24_e32 v182, 0x1900, v60
	v_sub_nc_u16 v66, v114, v2
	v_lshlrev_b32_e32 v1, 4, v1
	s_clause 0x1
	global_load_dwordx4 v[12:15], v0, s[12:13] offset:1472
	global_load_dwordx4 v[8:11], v1, s[12:13] offset:1440
	v_mul_u32_u24_sdwa v0, v66, v5 dst_sel:DWORD dst_unused:UNUSED_PAD src0_sel:WORD_0 src1_sel:DWORD
	global_load_dwordx4 v[4:7], v1, s[12:13] offset:1456
	v_lshlrev_b32_e32 v71, 4, v71
	v_cmp_gt_u32_e64 s0, 0x50, v96
	v_mul_i32_i24_e32 v60, 3, v102
	v_lshlrev_b32_e32 v36, 4, v0
	s_clause 0x3
	global_load_dwordx4 v[0:3], v1, s[12:13] offset:1472
	global_load_dwordx4 v[20:23], v36, s[12:13] offset:1440
	;; [unrolled: 1-line block ×4, first 2 shown]
	ds_read_b128 v[72:75], v80
	ds_read_b128 v[76:79], v122 offset:25600
	ds_read_b128 v[83:86], v122 offset:38400
	;; [unrolled: 1-line block ×5, first 2 shown]
	ds_read_b128 v[134:137], v127
	ds_read_b128 v[138:141], v122 offset:17920
	ds_read_b128 v[142:145], v122 offset:30720
	;; [unrolled: 1-line block ×8, first 2 shown]
	v_cndmask_b32_e64 v82, v82, v118, s0
	v_add_co_u32 v64, s0, s12, v71
	v_add_co_ci_u32_e64 v71, null, s13, 0, s0
	s_add_u32 s1, s12, 0xc760
	v_add_co_u32 v170, s0, 0x1800, v64
	v_add_co_ci_u32_e64 v171, s0, 0, v71, s0
	s_addc_u32 s4, s13, 0
	s_mov_b32 s5, exec_lo
	s_waitcnt vmcnt(14) lgkmcnt(14)
	v_mul_f64 v[68:69], v[74:75], v[30:31]
	v_mul_f64 v[30:31], v[72:73], v[30:31]
	s_waitcnt vmcnt(12) lgkmcnt(12)
	v_mul_f64 v[172:173], v[85:86], v[46:47]
	v_mul_f64 v[46:47], v[83:84], v[46:47]
	;; [unrolled: 1-line block ×4, first 2 shown]
	s_waitcnt vmcnt(11) lgkmcnt(9)
	v_mul_f64 v[180:181], v[132:133], v[50:51]
	s_waitcnt vmcnt(10)
	v_mul_f64 v[174:175], v[89:90], v[42:43]
	v_mul_f64 v[42:43], v[87:88], v[42:43]
	s_waitcnt vmcnt(9)
	v_mul_f64 v[176:177], v[93:94], v[54:55]
	v_mul_f64 v[54:55], v[91:92], v[54:55]
	;; [unrolled: 1-line block ×3, first 2 shown]
	v_fma_f64 v[68:69], v[72:73], v[28:29], v[68:69]
	v_fma_f64 v[178:179], v[74:75], v[28:29], -v[30:31]
	v_fma_f64 v[83:84], v[83:84], v[44:45], v[172:173]
	v_fma_f64 v[44:45], v[85:86], v[44:45], -v[46:47]
	s_waitcnt vmcnt(8) lgkmcnt(7)
	v_mul_f64 v[46:47], v[140:141], v[58:59]
	v_mul_f64 v[58:59], v[138:139], v[58:59]
	v_fma_f64 v[76:77], v[76:77], v[24:25], v[120:121]
	v_fma_f64 v[78:79], v[78:79], v[24:25], -v[26:27]
	ds_read_b128 v[24:27], v122 offset:48640
	ds_read_b128 v[28:31], v122
	ds_read_b128 v[72:75], v128
	s_waitcnt vmcnt(7) lgkmcnt(9)
	v_mul_f64 v[85:86], v[144:145], v[18:19]
	v_mul_f64 v[18:19], v[142:143], v[18:19]
	v_fma_f64 v[42:43], v[89:90], v[40:41], -v[42:43]
	v_fma_f64 v[91:92], v[91:92], v[52:53], v[176:177]
	s_waitcnt vmcnt(6) lgkmcnt(8)
	v_mul_f64 v[89:90], v[148:149], v[14:15]
	v_mul_f64 v[120:121], v[146:147], v[14:15]
	s_waitcnt vmcnt(5) lgkmcnt(6)
	v_mul_f64 v[172:173], v[156:157], v[10:11]
	v_mul_f64 v[10:11], v[154:155], v[10:11]
	v_fma_f64 v[52:53], v[93:94], v[52:53], -v[54:55]
	s_waitcnt vmcnt(4) lgkmcnt(4)
	v_mul_f64 v[54:55], v[164:165], v[6:7]
	v_mul_f64 v[6:7], v[162:163], v[6:7]
	v_fma_f64 v[130:131], v[130:131], v[48:49], v[180:181]
	s_waitcnt vmcnt(3)
	v_mul_f64 v[93:94], v[152:153], v[2:3]
	v_mul_f64 v[2:3], v[150:151], v[2:3]
	v_fma_f64 v[48:49], v[132:133], v[48:49], -v[50:51]
	s_waitcnt vmcnt(2)
	v_mul_f64 v[50:51], v[160:161], v[22:23]
	v_mul_f64 v[22:23], v[158:159], v[22:23]
	s_waitcnt vmcnt(1) lgkmcnt(3)
	v_mul_f64 v[132:133], v[168:169], v[34:35]
	v_mul_f64 v[34:35], v[166:167], v[34:35]
	v_fma_f64 v[46:47], v[138:139], v[56:57], v[46:47]
	v_fma_f64 v[56:57], v[140:141], v[56:57], -v[58:59]
	s_waitcnt vmcnt(0) lgkmcnt(2)
	v_mul_f64 v[58:59], v[26:27], v[38:39]
	v_mul_f64 v[138:139], v[24:25], v[38:39]
	v_fma_f64 v[87:88], v[87:88], v[40:41], v[174:175]
	v_fma_f64 v[85:86], v[142:143], v[16:17], v[85:86]
	v_fma_f64 v[18:19], v[144:145], v[16:17], -v[18:19]
	ds_read_b128 v[14:17], v129
	ds_read_b128 v[38:41], v81
	v_fma_f64 v[89:90], v[146:147], v[12:13], v[89:90]
	v_fma_f64 v[12:13], v[148:149], v[12:13], -v[120:121]
	v_fma_f64 v[120:121], v[154:155], v[8:9], v[172:173]
	v_fma_f64 v[8:9], v[156:157], v[8:9], -v[10:11]
	;; [unrolled: 2-line block ×3, first 2 shown]
	s_waitcnt lgkmcnt(3)
	v_add_f64 v[54:55], v[30:31], -v[78:79]
	v_fma_f64 v[6:7], v[150:151], v[0:1], v[93:94]
	v_fma_f64 v[0:1], v[152:153], v[0:1], -v[2:3]
	v_add_f64 v[48:49], v[42:43], -v[48:49]
	v_fma_f64 v[2:3], v[158:159], v[20:21], v[50:51]
	v_fma_f64 v[20:21], v[160:161], v[20:21], -v[22:23]
	v_fma_f64 v[22:23], v[166:167], v[32:33], v[132:133]
	v_fma_f64 v[32:33], v[168:169], v[32:33], -v[34:35]
	v_add_f64 v[50:51], v[28:29], -v[76:77]
	v_add_f64 v[34:35], v[68:69], -v[83:84]
	v_fma_f64 v[24:25], v[24:25], v[36:37], v[58:59]
	v_fma_f64 v[26:27], v[26:27], v[36:37], -v[138:139]
	v_add_f64 v[36:37], v[178:179], -v[44:45]
	s_waitcnt lgkmcnt(1)
	v_add_f64 v[44:45], v[14:15], -v[91:92]
	v_add_f64 v[58:59], v[16:17], -v[52:53]
	;; [unrolled: 1-line block ×7, first 2 shown]
	s_waitcnt lgkmcnt(0)
	v_add_f64 v[85:86], v[38:39], -v[10:11]
	v_add_f64 v[89:90], v[40:41], -v[4:5]
	v_fma_f64 v[146:147], v[30:31], 2.0, -v[54:55]
	v_add_f64 v[91:92], v[120:121], -v[6:7]
	v_add_f64 v[130:131], v[8:9], -v[0:1]
	v_lshlrev_b32_sdwa v0, v62, v63 dst_sel:DWORD dst_unused:UNUSED_PAD src0_sel:DWORD src1_sel:WORD_0
	v_lshlrev_b32_sdwa v63, v62, v67 dst_sel:DWORD dst_unused:UNUSED_PAD src0_sel:DWORD src1_sel:WORD_0
	v_lshlrev_b64 v[93:94], 4, v[60:61]
	v_add_f64 v[132:133], v[134:135], -v[22:23]
	v_add_f64 v[138:139], v[136:137], -v[32:33]
	v_fma_f64 v[144:145], v[28:29], 2.0, -v[50:51]
	v_fma_f64 v[6:7], v[68:69], 2.0, -v[34:35]
	v_add_f64 v[142:143], v[2:3], -v[24:25]
	v_add_f64 v[32:33], v[20:21], -v[26:27]
	v_fma_f64 v[10:11], v[178:179], 2.0, -v[36:37]
	v_fma_f64 v[67:68], v[14:15], 2.0, -v[44:45]
	;; [unrolled: 1-line block ×13, first 2 shown]
	v_add_f64 v[4:5], v[44:45], v[48:49]
	v_add_f64 v[16:17], v[76:77], v[83:84]
	v_add_f64 v[18:19], v[78:79], -v[18:19]
	v_fma_f64 v[120:121], v[134:135], 2.0, -v[132:133]
	v_fma_f64 v[134:135], v[136:137], 2.0, -v[138:139]
	v_add3_u32 v136, 0, v182, v0
	v_add_f64 v[0:1], v[50:51], v[36:37]
	v_fma_f64 v[38:39], v[2:3], 2.0, -v[142:143]
	v_fma_f64 v[40:41], v[20:21], 2.0, -v[32:33]
	v_add_f64 v[2:3], v[54:55], -v[34:35]
	v_add_f64 v[8:9], v[144:145], -v[6:7]
	;; [unrolled: 1-line block ×6, first 2 shown]
	v_add_f64 v[32:33], v[132:133], v[32:33]
	v_add_f64 v[20:21], v[72:73], -v[22:23]
	v_add_f64 v[22:23], v[74:75], -v[24:25]
	v_add_f64 v[24:25], v[85:86], v[130:131]
	v_add_f64 v[34:35], v[138:139], -v[142:143]
	v_add_f64 v[28:29], v[87:88], -v[26:27]
	;; [unrolled: 1-line block ×4, first 2 shown]
	v_lshlrev_b32_sdwa v42, v62, v65 dst_sel:DWORD dst_unused:UNUSED_PAD src0_sel:DWORD src1_sel:WORD_0
	v_fma_f64 v[44:45], v[44:45], 2.0, -v[4:5]
	v_lshlrev_b32_sdwa v62, v62, v66 dst_sel:DWORD dst_unused:UNUSED_PAD src0_sel:DWORD src1_sel:WORD_0
	v_fma_f64 v[56:57], v[76:77], 2.0, -v[16:17]
	v_add_co_u32 v140, s0, 0x1860, v64
	v_add_f64 v[36:37], v[120:121], -v[38:39]
	v_add_f64 v[38:39], v[134:135], -v[40:41]
	v_add3_u32 v91, 0, v184, v42
	v_fma_f64 v[40:41], v[50:51], 2.0, -v[0:1]
	v_fma_f64 v[42:43], v[54:55], 2.0, -v[2:3]
	;; [unrolled: 1-line block ×16, first 2 shown]
	v_add_co_ci_u32_e64 v141, s0, 0, v71, s0
	v_add3_u32 v63, 0, v183, v63
	v_fma_f64 v[87:88], v[120:121], 2.0, -v[36:37]
	v_fma_f64 v[89:90], v[134:135], 2.0, -v[38:39]
	v_add3_u32 v62, 0, v185, v62
	s_barrier
	buffer_gl0_inv
	ds_write_b128 v95, v[0:3] offset:4800
	ds_write_b128 v95, v[40:43] offset:1600
	;; [unrolled: 1-line block ×3, first 2 shown]
	ds_write_b128 v95, v[48:51]
	ds_write_b128 v136, v[52:55]
	ds_write_b128 v136, v[44:47] offset:1600
	ds_write_b128 v136, v[12:15] offset:3200
	ds_write_b128 v136, v[4:7] offset:4800
	ds_write_b128 v63, v[65:68]
	ds_write_b128 v63, v[56:59] offset:1600
	ds_write_b128 v63, v[20:23] offset:3200
	ds_write_b128 v63, v[16:19] offset:4800
	;; [unrolled: 4-line block ×4, first 2 shown]
	v_add_co_u32 v2, s0, s12, v93
	v_add_co_ci_u32_e64 v3, s0, s13, v94, s0
	v_mul_i32_i24_e32 v60, 3, v82
	v_add_co_u32 v0, s0, 0x1800, v2
	v_add_co_ci_u32_e64 v1, s0, 0, v3, s0
	s_waitcnt lgkmcnt(0)
	s_barrier
	buffer_gl0_inv
	s_clause 0x1
	global_load_dwordx4 v[20:23], v[170:171], off offset:96
	global_load_dwordx4 v[12:15], v[140:141], off offset:16
	v_add_co_u32 v4, s0, 0x1860, v2
	v_add_co_ci_u32_e64 v5, s0, 0, v3, s0
	global_load_dwordx4 v[8:11], v[140:141], off offset:32
	v_lshlrev_b64 v[6:7], 4, v[60:61]
	s_clause 0x1
	global_load_dwordx4 v[16:19], v[0:1], off offset:96
	global_load_dwordx4 v[0:3], v[4:5], off offset:16
	v_lshlrev_b64 v[74:75], 4, v[118:119]
	v_lshlrev_b64 v[72:73], 4, v[116:117]
	;; [unrolled: 1-line block ×4, first 2 shown]
	v_add_co_u32 v26, s0, s12, v6
	v_add_co_ci_u32_e64 v27, s0, s13, v7, s0
	global_load_dwordx4 v[4:7], v[4:5], off offset:32
	v_add_co_u32 v24, s0, 0x1800, v26
	v_add_co_ci_u32_e64 v25, s0, 0, v27, s0
	v_add_co_u32 v32, s0, 0x1860, v26
	v_add_co_ci_u32_e64 v33, s0, 0, v27, s0
	s_clause 0x1
	global_load_dwordx4 v[28:31], v[24:25], off offset:96
	global_load_dwordx4 v[24:27], v[32:33], off offset:16
	v_add_co_u32 v34, s0, 0x2000, v64
	v_add_co_ci_u32_e64 v35, s0, 0, v71, s0
	v_add_co_u32 v40, s0, 0x2760, v64
	v_add_co_ci_u32_e64 v41, s0, 0, v71, s0
	v_add_co_u32 v48, s0, 0x4000, v64
	s_clause 0x1
	global_load_dwordx4 v[36:39], v[32:33], off offset:32
	global_load_dwordx4 v[32:35], v[34:35], off offset:1888
	v_add_co_ci_u32_e64 v49, s0, 0, v71, s0
	v_add_co_u32 v56, s0, 0x4560, v64
	s_clause 0x1
	global_load_dwordx4 v[44:47], v[40:41], off offset:16
	global_load_dwordx4 v[40:43], v[40:41], off offset:32
	v_add_co_ci_u32_e64 v57, s0, 0, v71, s0
	s_clause 0x2
	global_load_dwordx4 v[52:55], v[48:49], off offset:1376
	global_load_dwordx4 v[48:51], v[56:57], off offset:16
	;; [unrolled: 1-line block ×3, first 2 shown]
	ds_read_b128 v[83:86], v80
	ds_read_b128 v[87:90], v122 offset:25600
	ds_read_b128 v[91:94], v122 offset:38400
	v_lshlrev_b64 v[70:71], 4, v[114:115]
	v_lshlrev_b64 v[62:63], 4, v[108:109]
	;; [unrolled: 1-line block ×3, first 2 shown]
	ds_read_b128 v[107:110], v122 offset:15360
	ds_read_b128 v[111:114], v122 offset:28160
	ds_read_b128 v[115:118], v127
	ds_read_b128 v[130:133], v122 offset:40960
	ds_read_b128 v[134:137], v122 offset:17920
	;; [unrolled: 1-line block ×5, first 2 shown]
	v_lshlrev_b64 v[78:79], 4, v[96:97]
	v_cmp_lt_u32_e64 s0, 0x4f, v96
	v_lshlrev_b64 v[76:77], 4, v[102:103]
	v_lshlrev_b64 v[64:65], 4, v[104:105]
	v_cndmask_b32_e64 v97, 0, 0x6400, s0
	v_add_co_u32 v95, s0, s12, v78
	v_add_co_ci_u32_e64 v103, s0, s13, v79, s0
	v_add_co_u32 v105, s0, s12, v76
	v_add_co_ci_u32_e64 v121, s0, s13, v77, s0
	;; [unrolled: 2-line block ×11, first 2 shown]
	v_lshlrev_b32_e32 v121, 4, v82
	s_waitcnt vmcnt(14) lgkmcnt(10)
	v_mul_f64 v[119:120], v[85:86], v[22:23]
	v_mul_f64 v[22:23], v[83:84], v[22:23]
	s_waitcnt vmcnt(13) lgkmcnt(9)
	v_mul_f64 v[150:151], v[89:90], v[14:15]
	v_mul_f64 v[14:15], v[87:88], v[14:15]
	;; [unrolled: 3-line block ×5, first 2 shown]
	s_waitcnt vmcnt(9) lgkmcnt(4)
	v_mul_f64 v[170:171], v[130:131], v[6:7]
	v_fma_f64 v[119:120], v[83:84], v[20:21], v[119:120]
	v_fma_f64 v[166:167], v[85:86], v[20:21], -v[22:23]
	v_mul_f64 v[22:23], v[132:133], v[6:7]
	ds_read_b128 v[18:21], v122 offset:20480
	ds_read_b128 v[83:86], v122 offset:23040
	v_fma_f64 v[150:151], v[87:88], v[12:13], v[150:151]
	v_fma_f64 v[168:169], v[89:90], v[12:13], -v[14:15]
	ds_read_b128 v[10:13], v122 offset:33280
	ds_read_b128 v[87:90], v122 offset:35840
	v_fma_f64 v[91:92], v[91:92], v[8:9], v[154:155]
	v_fma_f64 v[93:94], v[93:94], v[8:9], -v[156:157]
	s_waitcnt vmcnt(8) lgkmcnt(7)
	v_mul_f64 v[154:155], v[136:137], v[30:31]
	v_mul_f64 v[30:31], v[134:135], v[30:31]
	s_waitcnt vmcnt(7) lgkmcnt(6)
	v_mul_f64 v[156:157], v[140:141], v[26:27]
	ds_read_b128 v[6:9], v128
	v_fma_f64 v[107:108], v[107:108], v[16:17], v[160:161]
	v_fma_f64 v[109:110], v[109:110], v[16:17], -v[162:163]
	v_fma_f64 v[111:112], v[111:112], v[0:1], v[164:165]
	v_fma_f64 v[113:114], v[113:114], v[0:1], -v[2:3]
	ds_read_b128 v[0:3], v122 offset:48640
	ds_read_b128 v[14:17], v122
	v_mul_f64 v[26:27], v[138:139], v[26:27]
	s_waitcnt vmcnt(6) lgkmcnt(8)
	v_mul_f64 v[162:163], v[144:145], v[38:39]
	v_mul_f64 v[38:39], v[142:143], v[38:39]
	v_add_co_u32 v160, s0, 0x6000, v172
	s_waitcnt vmcnt(5) lgkmcnt(6)
	v_mul_f64 v[164:165], v[20:21], v[34:35]
	v_fma_f64 v[130:131], v[130:131], v[4:5], v[22:23]
	v_fma_f64 v[4:5], v[132:133], v[4:5], -v[170:171]
	v_mul_f64 v[34:35], v[18:19], v[34:35]
	s_waitcnt vmcnt(4) lgkmcnt(4)
	v_mul_f64 v[132:133], v[12:13], v[46:47]
	v_mul_f64 v[46:47], v[10:11], v[46:47]
	s_waitcnt vmcnt(3)
	v_mul_f64 v[170:171], v[148:149], v[42:43]
	v_mul_f64 v[42:43], v[146:147], v[42:43]
	v_fma_f64 v[134:135], v[134:135], v[28:29], v[154:155]
	v_fma_f64 v[30:31], v[136:137], v[28:29], -v[30:31]
	s_waitcnt vmcnt(2)
	v_mul_f64 v[136:137], v[85:86], v[54:55]
	v_mul_f64 v[54:55], v[83:84], v[54:55]
	s_waitcnt vmcnt(1) lgkmcnt(3)
	v_mul_f64 v[154:155], v[89:90], v[50:51]
	v_fma_f64 v[138:139], v[138:139], v[24:25], v[156:157]
	v_mul_f64 v[50:51], v[87:88], v[50:51]
	s_waitcnt vmcnt(0) lgkmcnt(1)
	v_mul_f64 v[156:157], v[2:3], v[58:59]
	v_mul_f64 v[58:59], v[0:1], v[58:59]
	v_fma_f64 v[140:141], v[140:141], v[24:25], -v[26:27]
	ds_read_b128 v[22:25], v129
	ds_read_b128 v[26:29], v81
	v_fma_f64 v[142:143], v[142:143], v[36:37], v[162:163]
	v_fma_f64 v[36:37], v[144:145], v[36:37], -v[38:39]
	v_add_co_ci_u32_e64 v161, s0, 0, v173, s0
	v_fma_f64 v[18:19], v[18:19], v[32:33], v[164:165]
	v_add_f64 v[4:5], v[109:110], -v[4:5]
	v_fma_f64 v[20:21], v[20:21], v[32:33], -v[34:35]
	v_fma_f64 v[10:11], v[10:11], v[44:45], v[132:133]
	v_fma_f64 v[12:13], v[12:13], v[44:45], -v[46:47]
	v_fma_f64 v[32:33], v[146:147], v[40:41], v[170:171]
	v_fma_f64 v[34:35], v[148:149], v[40:41], -v[42:43]
	s_waitcnt lgkmcnt(2)
	v_add_f64 v[46:47], v[14:15], -v[150:151]
	v_add_co_u32 v172, s0, 0x6000, v174
	v_fma_f64 v[38:39], v[83:84], v[52:53], v[136:137]
	v_fma_f64 v[40:41], v[85:86], v[52:53], -v[54:55]
	v_fma_f64 v[42:43], v[87:88], v[48:49], v[154:155]
	v_fma_f64 v[44:45], v[89:90], v[48:49], -v[50:51]
	;; [unrolled: 2-line block ×3, first 2 shown]
	v_add_f64 v[48:49], v[16:17], -v[168:169]
	v_add_f64 v[50:51], v[119:120], -v[91:92]
	;; [unrolled: 1-line block ×3, first 2 shown]
	s_waitcnt lgkmcnt(1)
	v_add_f64 v[54:55], v[22:23], -v[111:112]
	v_add_f64 v[56:57], v[24:25], -v[113:114]
	;; [unrolled: 1-line block ×7, first 2 shown]
	s_waitcnt lgkmcnt(0)
	v_add_f64 v[88:89], v[26:27], -v[10:11]
	v_add_f64 v[94:95], v[28:29], -v[12:13]
	;; [unrolled: 1-line block ×4, first 2 shown]
	v_fma_f64 v[90:91], v[14:15], 2.0, -v[46:47]
	v_add_co_ci_u32_e64 v173, s0, 0, v175, s0
	v_add_co_u32 v103, s0, s12, v60
	v_add_f64 v[111:112], v[115:116], -v[42:43]
	v_add_f64 v[130:131], v[117:118], -v[44:45]
	;; [unrolled: 1-line block ×4, first 2 shown]
	v_fma_f64 v[92:93], v[16:17], 2.0, -v[48:49]
	v_fma_f64 v[10:11], v[119:120], 2.0, -v[50:51]
	;; [unrolled: 1-line block ×15, first 2 shown]
	v_add_f64 v[0:1], v[46:47], v[52:53]
	v_add_f64 v[2:3], v[48:49], -v[50:51]
	v_add_f64 v[4:5], v[54:55], v[4:5]
	v_fma_f64 v[115:116], v[115:116], 2.0, -v[111:112]
	v_fma_f64 v[117:118], v[117:118], 2.0, -v[130:131]
	;; [unrolled: 1-line block ×4, first 2 shown]
	v_add_f64 v[6:7], v[56:57], -v[58:59]
	v_add_f64 v[12:13], v[90:91], -v[10:11]
	v_add_f64 v[14:15], v[92:93], -v[14:15]
	v_add_f64 v[8:9], v[82:83], v[36:37]
	v_add_f64 v[10:11], v[86:87], -v[84:85]
	v_add_f64 v[16:17], v[113:114], -v[16:17]
	v_add_f64 v[18:19], v[119:120], -v[22:23]
	v_add_f64 v[20:21], v[88:89], v[34:35]
	;; [unrolled: 4-line block ×3, first 2 shown]
	v_add_f64 v[30:31], v[130:131], -v[42:43]
	v_add_f64 v[32:33], v[134:135], -v[140:141]
	v_add_f64 v[34:35], v[138:139], -v[142:143]
	v_add_co_ci_u32_e64 v105, s0, s13, v61, s0
	v_fma_f64 v[42:43], v[48:49], 2.0, -v[2:3]
	v_fma_f64 v[44:45], v[54:55], 2.0, -v[4:5]
	v_add_co_u32 v132, s0, 0x6000, v176
	v_add_f64 v[36:37], v[115:116], -v[38:39]
	v_add_f64 v[38:39], v[117:118], -v[40:41]
	v_fma_f64 v[40:41], v[46:47], 2.0, -v[0:1]
	v_fma_f64 v[48:49], v[90:91], 2.0, -v[12:13]
	;; [unrolled: 1-line block ×15, first 2 shown]
	v_add_co_ci_u32_e64 v133, s0, 0, v177, s0
	v_fma_f64 v[109:110], v[130:131], 2.0, -v[30:31]
	v_add_co_u32 v136, s0, 0x6000, v178
	v_fma_f64 v[111:112], v[115:116], 2.0, -v[36:37]
	v_fma_f64 v[113:114], v[117:118], 2.0, -v[38:39]
	v_add_co_ci_u32_e64 v137, s0, 0, v179, s0
	v_add_co_u32 v144, s0, 0x6000, v180
	v_add3_u32 v94, 0, v97, v121
	s_barrier
	buffer_gl0_inv
	ds_write_b128 v122, v[0:3] offset:19200
	ds_write_b128 v122, v[40:43] offset:6400
	;; [unrolled: 1-line block ×3, first 2 shown]
	ds_write_b128 v122, v[48:51]
	ds_write_b128 v129, v[52:55]
	ds_write_b128 v129, v[44:47] offset:6400
	ds_write_b128 v129, v[16:19] offset:12800
	;; [unrolled: 1-line block ×3, first 2 shown]
	ds_write_b128 v94, v[82:85]
	ds_write_b128 v94, v[56:59] offset:6400
	ds_write_b128 v94, v[24:27] offset:12800
	;; [unrolled: 1-line block ×11, first 2 shown]
	s_waitcnt lgkmcnt(0)
	s_barrier
	buffer_gl0_inv
	s_clause 0x2
	global_load_dwordx4 v[0:3], v[152:153], off offset:864
	global_load_dwordx4 v[4:7], v[158:159], off offset:864
	;; [unrolled: 1-line block ×3, first 2 shown]
	v_add_co_ci_u32_e64 v145, s0, 0, v181, s0
	v_add_co_u32 v140, s0, 0x6000, v182
	v_add_co_ci_u32_e64 v141, s0, 0, v183, s0
	v_add_co_u32 v12, s0, 0x6000, v184
	s_clause 0x3
	global_load_dwordx4 v[14:17], v[172:173], off offset:864
	global_load_dwordx4 v[18:21], v[132:133], off offset:864
	;; [unrolled: 1-line block ×4, first 2 shown]
	v_add_co_ci_u32_e64 v13, s0, 0, v185, s0
	v_add_co_u32 v38, s0, 0x6000, v103
	v_add_co_ci_u32_e64 v39, s0, 0, v105, s0
	s_clause 0x2
	global_load_dwordx4 v[30:33], v[140:141], off offset:864
	global_load_dwordx4 v[34:37], v[12:13], off offset:864
	global_load_dwordx4 v[38:41], v[38:39], off offset:864
	ds_read_b128 v[42:45], v122 offset:25600
	ds_read_b128 v[46:49], v122 offset:28160
	;; [unrolled: 1-line block ×4, first 2 shown]
	v_lshl_add_u32 v12, v106, 4, 0
	v_lshl_add_u32 v13, v104, 4, 0
	ds_read_b128 v[82:85], v122 offset:35840
	ds_read_b128 v[86:89], v122 offset:38400
	;; [unrolled: 1-line block ×6, first 2 shown]
	ds_read_b128 v[115:118], v122
	ds_read_b128 v[130:133], v128
	;; [unrolled: 1-line block ×8, first 2 shown]
	s_waitcnt vmcnt(9) lgkmcnt(17)
	v_mul_f64 v[58:59], v[44:45], v[2:3]
	v_mul_f64 v[2:3], v[42:43], v[2:3]
	s_waitcnt vmcnt(8) lgkmcnt(16)
	v_mul_f64 v[94:95], v[48:49], v[6:7]
	v_mul_f64 v[6:7], v[46:47], v[6:7]
	s_waitcnt vmcnt(7) lgkmcnt(15)
	v_mul_f64 v[119:120], v[52:53], v[10:11]
	v_mul_f64 v[10:11], v[50:51], v[10:11]
	s_waitcnt vmcnt(6) lgkmcnt(14)
	v_mul_f64 v[158:159], v[56:57], v[16:17]
	v_mul_f64 v[16:17], v[54:55], v[16:17]
	s_waitcnt vmcnt(5) lgkmcnt(13)
	v_mul_f64 v[160:161], v[84:85], v[20:21]
	v_mul_f64 v[20:21], v[82:83], v[20:21]
	s_waitcnt vmcnt(4) lgkmcnt(12)
	v_mul_f64 v[162:163], v[88:89], v[24:25]
	v_mul_f64 v[24:25], v[86:87], v[24:25]
	s_waitcnt vmcnt(3) lgkmcnt(11)
	v_mul_f64 v[164:165], v[92:93], v[28:29]
	v_mul_f64 v[28:29], v[90:91], v[28:29]
	s_waitcnt vmcnt(2) lgkmcnt(10)
	v_mul_f64 v[166:167], v[105:106], v[32:33]
	v_mul_f64 v[32:33], v[103:104], v[32:33]
	s_waitcnt vmcnt(1) lgkmcnt(9)
	v_mul_f64 v[168:169], v[109:110], v[36:37]
	v_mul_f64 v[36:37], v[107:108], v[36:37]
	s_waitcnt vmcnt(0) lgkmcnt(8)
	v_mul_f64 v[170:171], v[113:114], v[40:41]
	v_mul_f64 v[40:41], v[111:112], v[40:41]
	v_fma_f64 v[42:43], v[42:43], v[0:1], v[58:59]
	v_fma_f64 v[44:45], v[44:45], v[0:1], -v[2:3]
	v_fma_f64 v[46:47], v[46:47], v[4:5], v[94:95]
	v_fma_f64 v[48:49], v[48:49], v[4:5], -v[6:7]
	v_fma_f64 v[50:51], v[50:51], v[8:9], v[119:120]
	ds_read_b128 v[0:3], v129
	ds_read_b128 v[4:7], v12
	v_fma_f64 v[52:53], v[52:53], v[8:9], -v[10:11]
	v_fma_f64 v[54:55], v[54:55], v[14:15], v[158:159]
	v_fma_f64 v[56:57], v[56:57], v[14:15], -v[16:17]
	v_fma_f64 v[58:59], v[82:83], v[18:19], v[160:161]
	;; [unrolled: 2-line block ×7, first 2 shown]
	v_fma_f64 v[109:110], v[113:114], v[38:39], -v[40:41]
	s_waitcnt lgkmcnt(9)
	v_add_f64 v[8:9], v[115:116], -v[42:43]
	v_add_f64 v[10:11], v[117:118], -v[44:45]
	s_waitcnt lgkmcnt(0)
	v_add_f64 v[14:15], v[0:1], -v[46:47]
	v_add_f64 v[16:17], v[2:3], -v[48:49]
	;; [unrolled: 1-line block ×3, first 2 shown]
	s_barrier
	v_add_f64 v[20:21], v[132:133], -v[52:53]
	v_add_f64 v[22:23], v[142:143], -v[54:55]
	;; [unrolled: 1-line block ×15, first 2 shown]
	v_fma_f64 v[50:51], v[115:116], 2.0, -v[8:9]
	v_fma_f64 v[52:53], v[117:118], 2.0, -v[10:11]
	buffer_gl0_inv
	v_fma_f64 v[0:1], v[0:1], 2.0, -v[14:15]
	v_fma_f64 v[2:3], v[2:3], 2.0, -v[16:17]
	;; [unrolled: 1-line block ×18, first 2 shown]
	ds_write_b128 v122, v[8:11] offset:25600
	ds_write_b128 v122, v[50:53]
	ds_write_b128 v129, v[0:3]
	ds_write_b128 v129, v[14:17] offset:25600
	ds_write_b128 v128, v[54:57]
	ds_write_b128 v128, v[18:21] offset:25600
	;; [unrolled: 2-line block ×9, first 2 shown]
	s_waitcnt lgkmcnt(0)
	s_barrier
	buffer_gl0_inv
	ds_read_b128 v[4:7], v122
	v_sub_nc_u32_e32 v14, 0, v123
                                        ; implicit-def: $vgpr0_vgpr1
                                        ; implicit-def: $vgpr8_vgpr9
                                        ; implicit-def: $vgpr10_vgpr11
	v_cmpx_ne_u32_e32 0, v96
	s_xor_b32 s5, exec_lo, s5
	s_cbranch_execz .LBB0_15
; %bb.14:
	v_add_co_u32 v0, s0, s1, v78
	v_add_co_ci_u32_e64 v1, s0, s4, v79, s0
	global_load_dwordx4 v[15:18], v[0:1], off
	ds_read_b128 v[0:3], v14 offset:51200
	s_waitcnt lgkmcnt(0)
	v_add_f64 v[8:9], v[4:5], -v[0:1]
	v_add_f64 v[10:11], v[6:7], v[2:3]
	v_add_f64 v[2:3], v[6:7], -v[2:3]
	v_add_f64 v[0:1], v[4:5], v[0:1]
	v_mul_f64 v[6:7], v[8:9], 0.5
	v_mul_f64 v[4:5], v[10:11], 0.5
	;; [unrolled: 1-line block ×3, first 2 shown]
	s_waitcnt vmcnt(0)
	v_mul_f64 v[8:9], v[6:7], v[17:18]
	v_fma_f64 v[10:11], v[4:5], v[17:18], v[2:3]
	v_fma_f64 v[2:3], v[4:5], v[17:18], -v[2:3]
	v_fma_f64 v[19:20], v[0:1], 0.5, v[8:9]
	v_fma_f64 v[0:1], v[0:1], 0.5, -v[8:9]
	v_fma_f64 v[10:11], -v[15:16], v[6:7], v[10:11]
	v_fma_f64 v[2:3], -v[15:16], v[6:7], v[2:3]
	v_fma_f64 v[8:9], v[4:5], v[15:16], v[19:20]
	v_fma_f64 v[0:1], -v[4:5], v[15:16], v[0:1]
                                        ; implicit-def: $vgpr4_vgpr5
.LBB0_15:
	s_or_saveexec_b32 s0, s5
	v_mul_i32_i24_e32 v15, 0xffffff70, v102
	s_xor_b32 exec_lo, exec_lo, s0
	s_cbranch_execz .LBB0_17
; %bb.16:
	v_mov_b32_e32 v18, 0
	s_waitcnt lgkmcnt(0)
	v_add_f64 v[8:9], v[4:5], v[6:7]
	v_add_f64 v[0:1], v[4:5], -v[6:7]
	v_mov_b32_e32 v10, 0
	v_mov_b32_e32 v11, 0
	ds_read_b64 v[16:17], v18 offset:25608
	v_mov_b32_e32 v2, v10
	v_mov_b32_e32 v3, v11
	s_waitcnt lgkmcnt(0)
	v_xor_b32_e32 v17, 0x80000000, v17
	ds_write_b64 v18, v[16:17] offset:25608
.LBB0_17:
	s_or_b32 exec_lo, exec_lo, s0
	s_waitcnt lgkmcnt(0)
	v_add_co_u32 v4, s0, s1, v76
	v_add_co_ci_u32_e64 v5, s0, s4, v77, s0
	v_add_co_u32 v16, s0, s1, v74
	v_add_co_ci_u32_e64 v17, s0, s4, v75, s0
	global_load_dwordx4 v[4:7], v[4:5], off
	v_add_nc_u32_e32 v15, v126, v15
	v_add_co_u32 v20, s0, s1, v72
	global_load_dwordx4 v[16:19], v[16:17], off
	ds_write2_b64 v122, v[8:9], v[10:11] offset1:1
	ds_write_b128 v14, v[0:3] offset:51200
	v_add_co_ci_u32_e64 v21, s0, s4, v73, s0
	ds_read_b128 v[0:3], v15
	ds_read_b128 v[8:11], v14 offset:48640
	global_load_dwordx4 v[20:23], v[20:21], off
	s_waitcnt lgkmcnt(0)
	v_add_f64 v[24:25], v[0:1], -v[8:9]
	v_add_f64 v[26:27], v[2:3], v[10:11]
	v_add_f64 v[2:3], v[2:3], -v[10:11]
	v_add_f64 v[0:1], v[0:1], v[8:9]
	v_mul_f64 v[10:11], v[24:25], 0.5
	v_mul_f64 v[24:25], v[26:27], 0.5
	;; [unrolled: 1-line block ×3, first 2 shown]
	s_waitcnt vmcnt(2)
	v_mul_f64 v[8:9], v[10:11], v[6:7]
	v_fma_f64 v[26:27], v[24:25], v[6:7], v[2:3]
	v_fma_f64 v[2:3], v[24:25], v[6:7], -v[2:3]
	v_fma_f64 v[6:7], v[0:1], 0.5, v[8:9]
	v_fma_f64 v[0:1], v[0:1], 0.5, -v[8:9]
	v_fma_f64 v[8:9], -v[4:5], v[10:11], v[26:27]
	v_fma_f64 v[2:3], -v[4:5], v[10:11], v[2:3]
	v_fma_f64 v[6:7], v[24:25], v[4:5], v[6:7]
	v_fma_f64 v[0:1], -v[24:25], v[4:5], v[0:1]
	ds_write_b64 v15, v[8:9] offset:8
	ds_write_b64 v14, v[2:3] offset:48648
	ds_write_b64 v15, v[6:7]
	ds_write_b64 v14, v[0:1] offset:48640
	v_add_co_u32 v8, s0, s1, v70
	ds_read_b128 v[0:3], v128
	ds_read_b128 v[4:7], v14 offset:46080
	v_add_co_ci_u32_e64 v9, s0, s4, v71, s0
	v_add_co_u32 v15, s0, s1, v68
	global_load_dwordx4 v[8:11], v[8:9], off
	s_waitcnt lgkmcnt(0)
	v_add_f64 v[24:25], v[0:1], -v[4:5]
	v_add_f64 v[26:27], v[2:3], v[6:7]
	v_add_f64 v[2:3], v[2:3], -v[6:7]
	v_add_f64 v[0:1], v[0:1], v[4:5]
	v_mul_f64 v[6:7], v[24:25], 0.5
	v_mul_f64 v[24:25], v[26:27], 0.5
	;; [unrolled: 1-line block ×3, first 2 shown]
	s_waitcnt vmcnt(2)
	v_mul_f64 v[4:5], v[6:7], v[18:19]
	v_fma_f64 v[26:27], v[24:25], v[18:19], v[2:3]
	v_fma_f64 v[2:3], v[24:25], v[18:19], -v[2:3]
	v_fma_f64 v[18:19], v[0:1], 0.5, v[4:5]
	v_fma_f64 v[0:1], v[0:1], 0.5, -v[4:5]
	v_fma_f64 v[4:5], -v[16:17], v[6:7], v[26:27]
	v_fma_f64 v[2:3], -v[16:17], v[6:7], v[2:3]
	v_fma_f64 v[6:7], v[24:25], v[16:17], v[18:19]
	v_fma_f64 v[0:1], -v[24:25], v[16:17], v[0:1]
	v_add_co_ci_u32_e64 v16, s0, s4, v69, s0
	v_add_co_u32 v19, s0, s1, v66
	ds_write2_b64 v128, v[6:7], v[4:5] offset1:1
	ds_write_b128 v14, v[0:3] offset:46080
	ds_read_b128 v[0:3], v81
	ds_read_b128 v[4:7], v14 offset:43520
	global_load_dwordx4 v[15:18], v[15:16], off
	s_waitcnt lgkmcnt(0)
	v_add_f64 v[24:25], v[0:1], -v[4:5]
	v_add_f64 v[26:27], v[2:3], v[6:7]
	v_add_f64 v[2:3], v[2:3], -v[6:7]
	v_add_f64 v[0:1], v[0:1], v[4:5]
	v_mul_f64 v[6:7], v[24:25], 0.5
	v_mul_f64 v[24:25], v[26:27], 0.5
	;; [unrolled: 1-line block ×3, first 2 shown]
	s_waitcnt vmcnt(2)
	v_mul_f64 v[4:5], v[6:7], v[22:23]
	v_fma_f64 v[26:27], v[24:25], v[22:23], v[2:3]
	v_fma_f64 v[2:3], v[24:25], v[22:23], -v[2:3]
	v_fma_f64 v[22:23], v[0:1], 0.5, v[4:5]
	v_fma_f64 v[0:1], v[0:1], 0.5, -v[4:5]
	v_fma_f64 v[4:5], -v[20:21], v[6:7], v[26:27]
	v_fma_f64 v[2:3], -v[20:21], v[6:7], v[2:3]
	v_fma_f64 v[6:7], v[24:25], v[20:21], v[22:23]
	v_fma_f64 v[0:1], -v[24:25], v[20:21], v[0:1]
	v_add_co_ci_u32_e64 v20, s0, s4, v67, s0
	ds_write2_b64 v81, v[6:7], v[4:5] offset1:1
	ds_write_b128 v14, v[0:3] offset:43520
	ds_read_b128 v[0:3], v127
	ds_read_b128 v[4:7], v14 offset:40960
	global_load_dwordx4 v[19:22], v[19:20], off
	s_waitcnt lgkmcnt(0)
	v_add_f64 v[23:24], v[0:1], -v[4:5]
	v_add_f64 v[25:26], v[2:3], v[6:7]
	v_add_f64 v[2:3], v[2:3], -v[6:7]
	v_add_f64 v[0:1], v[0:1], v[4:5]
	v_mul_f64 v[6:7], v[23:24], 0.5
	v_mul_f64 v[23:24], v[25:26], 0.5
	v_mul_f64 v[2:3], v[2:3], 0.5
	s_waitcnt vmcnt(2)
	v_mul_f64 v[4:5], v[6:7], v[10:11]
	v_fma_f64 v[25:26], v[23:24], v[10:11], v[2:3]
	v_fma_f64 v[2:3], v[23:24], v[10:11], -v[2:3]
	v_fma_f64 v[10:11], v[0:1], 0.5, v[4:5]
	v_fma_f64 v[0:1], v[0:1], 0.5, -v[4:5]
	v_fma_f64 v[4:5], -v[8:9], v[6:7], v[25:26]
	v_fma_f64 v[2:3], -v[8:9], v[6:7], v[2:3]
	v_fma_f64 v[6:7], v[23:24], v[8:9], v[10:11]
	v_fma_f64 v[0:1], -v[23:24], v[8:9], v[0:1]
	v_add_co_u32 v8, s0, s1, v64
	v_add_co_ci_u32_e64 v9, s0, s4, v65, s0
	ds_write2_b64 v127, v[6:7], v[4:5] offset1:1
	ds_write_b128 v14, v[0:3] offset:40960
	ds_read_b128 v[0:3], v80
	ds_read_b128 v[4:7], v14 offset:38400
	global_load_dwordx4 v[8:11], v[8:9], off
	s_waitcnt lgkmcnt(0)
	v_add_f64 v[23:24], v[0:1], -v[4:5]
	v_add_f64 v[25:26], v[2:3], v[6:7]
	v_add_f64 v[2:3], v[2:3], -v[6:7]
	v_add_f64 v[0:1], v[0:1], v[4:5]
	v_mul_f64 v[6:7], v[23:24], 0.5
	v_mul_f64 v[23:24], v[25:26], 0.5
	v_mul_f64 v[2:3], v[2:3], 0.5
	s_waitcnt vmcnt(2)
	v_mul_f64 v[4:5], v[6:7], v[17:18]
	v_fma_f64 v[25:26], v[23:24], v[17:18], v[2:3]
	v_fma_f64 v[2:3], v[23:24], v[17:18], -v[2:3]
	v_fma_f64 v[17:18], v[0:1], 0.5, v[4:5]
	v_fma_f64 v[0:1], v[0:1], 0.5, -v[4:5]
	v_fma_f64 v[4:5], -v[15:16], v[6:7], v[25:26]
	v_fma_f64 v[2:3], -v[15:16], v[6:7], v[2:3]
	v_fma_f64 v[6:7], v[23:24], v[15:16], v[17:18]
	v_fma_f64 v[0:1], -v[23:24], v[15:16], v[0:1]
	v_add_co_u32 v15, s0, s1, v62
	;; [unrolled: 25-line block ×3, first 2 shown]
	v_add_co_ci_u32_e64 v20, s0, s4, v61, s0
	ds_write2_b64 v125, v[6:7], v[4:5] offset1:1
	ds_write_b128 v14, v[0:3] offset:35840
	ds_read_b128 v[0:3], v13
	ds_read_b128 v[4:7], v14 offset:33280
	global_load_dwordx4 v[19:22], v[19:20], off
	s_waitcnt lgkmcnt(0)
	v_add_f64 v[23:24], v[0:1], -v[4:5]
	v_add_f64 v[25:26], v[2:3], v[6:7]
	v_add_f64 v[2:3], v[2:3], -v[6:7]
	v_add_f64 v[0:1], v[0:1], v[4:5]
	v_mul_f64 v[6:7], v[23:24], 0.5
	v_mul_f64 v[23:24], v[25:26], 0.5
	;; [unrolled: 1-line block ×3, first 2 shown]
	s_waitcnt vmcnt(2)
	v_mul_f64 v[4:5], v[6:7], v[10:11]
	v_fma_f64 v[25:26], v[23:24], v[10:11], v[2:3]
	v_fma_f64 v[2:3], v[23:24], v[10:11], -v[2:3]
	v_fma_f64 v[10:11], v[0:1], 0.5, v[4:5]
	v_fma_f64 v[0:1], v[0:1], 0.5, -v[4:5]
	v_fma_f64 v[4:5], -v[8:9], v[6:7], v[25:26]
	v_fma_f64 v[2:3], -v[8:9], v[6:7], v[2:3]
	v_fma_f64 v[6:7], v[23:24], v[8:9], v[10:11]
	v_fma_f64 v[0:1], -v[23:24], v[8:9], v[0:1]
	ds_write2_b64 v13, v[6:7], v[4:5] offset1:1
	ds_write_b128 v14, v[0:3] offset:33280
	ds_read_b128 v[0:3], v124
	ds_read_b128 v[4:7], v14 offset:30720
	s_waitcnt lgkmcnt(0)
	v_add_f64 v[8:9], v[0:1], -v[4:5]
	v_add_f64 v[10:11], v[2:3], v[6:7]
	v_add_f64 v[2:3], v[2:3], -v[6:7]
	v_add_f64 v[0:1], v[0:1], v[4:5]
	v_mul_f64 v[6:7], v[8:9], 0.5
	v_mul_f64 v[8:9], v[10:11], 0.5
	;; [unrolled: 1-line block ×3, first 2 shown]
	s_waitcnt vmcnt(1)
	v_mul_f64 v[4:5], v[6:7], v[17:18]
	v_fma_f64 v[10:11], v[8:9], v[17:18], v[2:3]
	v_fma_f64 v[2:3], v[8:9], v[17:18], -v[2:3]
	v_fma_f64 v[17:18], v[0:1], 0.5, v[4:5]
	v_fma_f64 v[0:1], v[0:1], 0.5, -v[4:5]
	v_fma_f64 v[4:5], -v[15:16], v[6:7], v[10:11]
	v_fma_f64 v[2:3], -v[15:16], v[6:7], v[2:3]
	v_fma_f64 v[6:7], v[8:9], v[15:16], v[17:18]
	v_fma_f64 v[0:1], -v[8:9], v[15:16], v[0:1]
	ds_write2_b64 v124, v[6:7], v[4:5] offset1:1
	ds_write_b128 v14, v[0:3] offset:30720
	ds_read_b128 v[0:3], v12
	ds_read_b128 v[4:7], v14 offset:28160
	s_waitcnt lgkmcnt(0)
	v_add_f64 v[8:9], v[0:1], -v[4:5]
	v_add_f64 v[10:11], v[2:3], v[6:7]
	v_add_f64 v[2:3], v[2:3], -v[6:7]
	v_add_f64 v[0:1], v[0:1], v[4:5]
	v_mul_f64 v[6:7], v[8:9], 0.5
	v_mul_f64 v[8:9], v[10:11], 0.5
	;; [unrolled: 1-line block ×3, first 2 shown]
	s_waitcnt vmcnt(0)
	v_mul_f64 v[4:5], v[6:7], v[21:22]
	v_fma_f64 v[10:11], v[8:9], v[21:22], v[2:3]
	v_fma_f64 v[2:3], v[8:9], v[21:22], -v[2:3]
	v_fma_f64 v[15:16], v[0:1], 0.5, v[4:5]
	v_fma_f64 v[0:1], v[0:1], 0.5, -v[4:5]
	v_fma_f64 v[4:5], -v[19:20], v[6:7], v[10:11]
	v_fma_f64 v[2:3], -v[19:20], v[6:7], v[2:3]
	v_fma_f64 v[6:7], v[8:9], v[19:20], v[15:16]
	v_fma_f64 v[0:1], -v[8:9], v[19:20], v[0:1]
	ds_write2_b64 v12, v[6:7], v[4:5] offset1:1
	ds_write_b128 v14, v[0:3] offset:28160
	s_waitcnt lgkmcnt(0)
	s_barrier
	buffer_gl0_inv
	s_and_saveexec_b32 s0, vcc_lo
	s_cbranch_execz .LBB0_20
; %bb.18:
	v_mul_lo_u32 v2, s3, v100
	v_mul_lo_u32 v3, s2, v101
	v_mad_u64_u32 v[0:1], null, s2, v100, 0
	v_lshl_add_u32 v36, v96, 4, 0
	v_mov_b32_e32 v97, 0
	v_lshlrev_b64 v[6:7], 4, v[98:99]
	v_add_nc_u32_e32 v14, 0xa0, v96
	v_add_nc_u32_e32 v18, 0x140, v96
	;; [unrolled: 1-line block ×3, first 2 shown]
	v_add3_u32 v1, v1, v3, v2
	ds_read_b128 v[2:5], v36
	v_lshlrev_b64 v[16:17], 4, v[96:97]
	v_mov_b32_e32 v15, v97
	v_mov_b32_e32 v19, v97
	v_lshlrev_b64 v[0:1], 4, v[0:1]
	v_mov_b32_e32 v33, v97
	v_add_nc_u32_e32 v34, 0x460, v96
	v_lshlrev_b64 v[22:23], 4, v[14:15]
	v_lshlrev_b64 v[18:19], 4, v[18:19]
	v_mov_b32_e32 v35, v97
	v_add_co_u32 v0, vcc_lo, s10, v0
	v_add_co_ci_u32_e32 v1, vcc_lo, s11, v1, vcc_lo
	v_lshlrev_b64 v[32:33], 4, v[32:33]
	v_add_co_u32 v0, vcc_lo, v0, v6
	v_add_co_ci_u32_e32 v1, vcc_lo, v1, v7, vcc_lo
	ds_read_b128 v[6:9], v36 offset:2560
	ds_read_b128 v[10:13], v36 offset:5120
	v_add_co_u32 v20, vcc_lo, v0, v16
	v_add_co_ci_u32_e32 v21, vcc_lo, v1, v17, vcc_lo
	ds_read_b128 v[14:17], v36 offset:48640
	s_waitcnt lgkmcnt(3)
	global_store_dwordx4 v[20:21], v[2:5], off
	v_add_co_u32 v2, vcc_lo, v0, v22
	v_add_co_ci_u32_e32 v3, vcc_lo, v1, v23, vcc_lo
	v_add_co_u32 v4, vcc_lo, v0, v18
	v_add_co_ci_u32_e32 v5, vcc_lo, v1, v19, vcc_lo
	v_add_nc_u32_e32 v18, 0x1e0, v96
	v_mov_b32_e32 v19, v97
	v_add_nc_u32_e32 v20, 0x280, v96
	v_mov_b32_e32 v21, v97
	s_waitcnt lgkmcnt(2)
	global_store_dwordx4 v[2:3], v[6:9], off
	s_waitcnt lgkmcnt(1)
	global_store_dwordx4 v[4:5], v[10:13], off
	v_lshlrev_b64 v[18:19], 4, v[18:19]
	ds_read_b128 v[2:5], v36 offset:7680
	ds_read_b128 v[6:9], v36 offset:10240
	v_add_nc_u32_e32 v22, 0x320, v96
	v_mov_b32_e32 v23, v97
	v_lshlrev_b64 v[20:21], 4, v[20:21]
	ds_read_b128 v[10:13], v36 offset:12800
	v_add_co_u32 v26, vcc_lo, v0, v18
	v_add_co_ci_u32_e32 v27, vcc_lo, v1, v19, vcc_lo
	v_lshlrev_b64 v[18:19], 4, v[22:23]
	v_add_co_u32 v28, vcc_lo, v0, v20
	v_add_co_ci_u32_e32 v29, vcc_lo, v1, v21, vcc_lo
	ds_read_b128 v[22:25], v36 offset:17920
	v_add_co_u32 v30, vcc_lo, v0, v18
	v_add_co_ci_u32_e32 v31, vcc_lo, v1, v19, vcc_lo
	ds_read_b128 v[18:21], v36 offset:15360
	s_waitcnt lgkmcnt(4)
	global_store_dwordx4 v[26:27], v[2:5], off
	s_waitcnt lgkmcnt(3)
	global_store_dwordx4 v[28:29], v[6:9], off
	;; [unrolled: 2-line block ×3, first 2 shown]
	v_lshlrev_b64 v[2:3], 4, v[34:35]
	v_add_co_u32 v4, vcc_lo, v0, v32
	v_add_co_ci_u32_e32 v5, vcc_lo, v1, v33, vcc_lo
	v_add_nc_u32_e32 v8, 0x500, v96
	v_add_co_u32 v6, vcc_lo, v0, v2
	v_add_co_ci_u32_e32 v7, vcc_lo, v1, v3, vcc_lo
	v_mov_b32_e32 v9, v97
	v_add_nc_u32_e32 v10, 0x5a0, v96
	v_mov_b32_e32 v11, v97
	s_waitcnt lgkmcnt(1)
	global_store_dwordx4 v[6:7], v[22:25], off
	v_add_nc_u32_e32 v22, 0x640, v96
	v_mov_b32_e32 v23, v97
	s_waitcnt lgkmcnt(0)
	global_store_dwordx4 v[4:5], v[18:21], off
	v_lshlrev_b64 v[18:19], 4, v[8:9]
	ds_read_b128 v[2:5], v36 offset:20480
	v_lshlrev_b64 v[20:21], 4, v[10:11]
	ds_read_b128 v[6:9], v36 offset:23040
	ds_read_b128 v[10:13], v36 offset:25600
	v_lshlrev_b64 v[22:23], 4, v[22:23]
	v_add_nc_u32_e32 v30, 0x6e0, v96
	v_add_co_u32 v26, vcc_lo, v0, v18
	v_add_co_ci_u32_e32 v27, vcc_lo, v1, v19, vcc_lo
	v_add_co_u32 v28, vcc_lo, v0, v20
	v_add_co_ci_u32_e32 v29, vcc_lo, v1, v21, vcc_lo
	v_add_co_u32 v32, vcc_lo, v0, v22
	v_mov_b32_e32 v31, v97
	ds_read_b128 v[18:21], v36 offset:28160
	v_add_co_ci_u32_e32 v33, vcc_lo, v1, v23, vcc_lo
	ds_read_b128 v[22:25], v36 offset:30720
	v_add_nc_u32_e32 v34, 0x780, v96
	v_lshlrev_b64 v[30:31], 4, v[30:31]
	s_waitcnt lgkmcnt(4)
	global_store_dwordx4 v[26:27], v[2:5], off
	s_waitcnt lgkmcnt(3)
	global_store_dwordx4 v[28:29], v[6:9], off
	;; [unrolled: 2-line block ×3, first 2 shown]
	v_add_nc_u32_e32 v6, 0x820, v96
	v_mov_b32_e32 v7, v97
	v_lshlrev_b64 v[2:3], 4, v[34:35]
	v_add_nc_u32_e32 v10, 0x8c0, v96
	v_add_co_u32 v4, vcc_lo, v0, v30
	v_add_co_ci_u32_e32 v5, vcc_lo, v1, v31, vcc_lo
	v_add_co_u32 v2, vcc_lo, v0, v2
	v_add_co_ci_u32_e32 v3, vcc_lo, v1, v3, vcc_lo
	v_mov_b32_e32 v11, v97
	s_waitcnt lgkmcnt(1)
	global_store_dwordx4 v[4:5], v[18:21], off
	v_lshlrev_b64 v[18:19], 4, v[6:7]
	s_waitcnt lgkmcnt(0)
	global_store_dwordx4 v[2:3], v[22:25], off
	ds_read_b128 v[2:5], v36 offset:33280
	ds_read_b128 v[6:9], v36 offset:35840
	v_lshlrev_b64 v[20:21], 4, v[10:11]
	ds_read_b128 v[10:13], v36 offset:38400
	v_add_nc_u32_e32 v22, 0x960, v96
	v_mov_b32_e32 v23, v97
	v_add_co_u32 v18, vcc_lo, v0, v18
	v_add_co_ci_u32_e32 v19, vcc_lo, v1, v19, vcc_lo
	v_lshlrev_b64 v[22:23], 4, v[22:23]
	v_add_co_u32 v20, vcc_lo, v0, v20
	v_add_nc_u32_e32 v24, 0xa00, v96
	v_mov_b32_e32 v25, v97
	v_add_co_ci_u32_e32 v21, vcc_lo, v1, v21, vcc_lo
	v_add_co_u32 v22, vcc_lo, v0, v22
	s_waitcnt lgkmcnt(2)
	global_store_dwordx4 v[18:19], v[2:5], off
	s_waitcnt lgkmcnt(1)
	global_store_dwordx4 v[20:21], v[6:9], off
	v_lshlrev_b64 v[6:7], 4, v[24:25]
	v_add_co_ci_u32_e32 v23, vcc_lo, v1, v23, vcc_lo
	v_add_nc_u32_e32 v8, 0xaa0, v96
	v_mov_b32_e32 v9, v97
	v_add_nc_u32_e32 v18, 0xb40, v96
	v_mov_b32_e32 v19, v97
	v_add_co_u32 v20, vcc_lo, v0, v6
	s_waitcnt lgkmcnt(0)
	global_store_dwordx4 v[22:23], v[10:13], off
	ds_read_b128 v[2:5], v36 offset:40960
	v_add_co_ci_u32_e32 v21, vcc_lo, v1, v7, vcc_lo
	v_lshlrev_b64 v[22:23], 4, v[8:9]
	ds_read_b128 v[6:9], v36 offset:43520
	ds_read_b128 v[10:13], v36 offset:46080
	v_add_nc_u32_e32 v24, 0xbe0, v96
	v_lshlrev_b64 v[18:19], 4, v[18:19]
	v_add_co_u32 v22, vcc_lo, v0, v22
	v_lshlrev_b64 v[24:25], 4, v[24:25]
	v_add_co_ci_u32_e32 v23, vcc_lo, v1, v23, vcc_lo
	v_add_co_u32 v18, vcc_lo, v0, v18
	v_add_co_ci_u32_e32 v19, vcc_lo, v1, v19, vcc_lo
	v_add_co_u32 v24, vcc_lo, v0, v24
	v_add_co_ci_u32_e32 v25, vcc_lo, v1, v25, vcc_lo
	v_cmp_eq_u32_e32 vcc_lo, 0x9f, v96
	s_waitcnt lgkmcnt(2)
	global_store_dwordx4 v[20:21], v[2:5], off
	s_waitcnt lgkmcnt(1)
	global_store_dwordx4 v[22:23], v[6:9], off
	;; [unrolled: 2-line block ×3, first 2 shown]
	global_store_dwordx4 v[24:25], v[14:17], off
	s_and_b32 exec_lo, exec_lo, vcc_lo
	s_cbranch_execz .LBB0_20
; %bb.19:
	ds_read_b128 v[2:5], v97 offset:51200
	v_add_co_u32 v0, vcc_lo, 0xc800, v0
	v_add_co_ci_u32_e32 v1, vcc_lo, 0, v1, vcc_lo
	s_waitcnt lgkmcnt(0)
	global_store_dwordx4 v[0:1], v[2:5], off
.LBB0_20:
	s_endpgm
	.section	.rodata,"a",@progbits
	.p2align	6, 0x0
	.amdhsa_kernel fft_rtc_back_len3200_factors_10_10_4_4_2_wgs_160_tpt_160_halfLds_dp_op_CI_CI_unitstride_sbrr_R2C_dirReg
		.amdhsa_group_segment_fixed_size 0
		.amdhsa_private_segment_fixed_size 0
		.amdhsa_kernarg_size 104
		.amdhsa_user_sgpr_count 6
		.amdhsa_user_sgpr_private_segment_buffer 1
		.amdhsa_user_sgpr_dispatch_ptr 0
		.amdhsa_user_sgpr_queue_ptr 0
		.amdhsa_user_sgpr_kernarg_segment_ptr 1
		.amdhsa_user_sgpr_dispatch_id 0
		.amdhsa_user_sgpr_flat_scratch_init 0
		.amdhsa_user_sgpr_private_segment_size 0
		.amdhsa_wavefront_size32 1
		.amdhsa_uses_dynamic_stack 0
		.amdhsa_system_sgpr_private_segment_wavefront_offset 0
		.amdhsa_system_sgpr_workgroup_id_x 1
		.amdhsa_system_sgpr_workgroup_id_y 0
		.amdhsa_system_sgpr_workgroup_id_z 0
		.amdhsa_system_sgpr_workgroup_info 0
		.amdhsa_system_vgpr_workitem_id 0
		.amdhsa_next_free_vgpr 195
		.amdhsa_next_free_sgpr 27
		.amdhsa_reserve_vcc 1
		.amdhsa_reserve_flat_scratch 0
		.amdhsa_float_round_mode_32 0
		.amdhsa_float_round_mode_16_64 0
		.amdhsa_float_denorm_mode_32 3
		.amdhsa_float_denorm_mode_16_64 3
		.amdhsa_dx10_clamp 1
		.amdhsa_ieee_mode 1
		.amdhsa_fp16_overflow 0
		.amdhsa_workgroup_processor_mode 1
		.amdhsa_memory_ordered 1
		.amdhsa_forward_progress 0
		.amdhsa_shared_vgpr_count 0
		.amdhsa_exception_fp_ieee_invalid_op 0
		.amdhsa_exception_fp_denorm_src 0
		.amdhsa_exception_fp_ieee_div_zero 0
		.amdhsa_exception_fp_ieee_overflow 0
		.amdhsa_exception_fp_ieee_underflow 0
		.amdhsa_exception_fp_ieee_inexact 0
		.amdhsa_exception_int_div_zero 0
	.end_amdhsa_kernel
	.text
.Lfunc_end0:
	.size	fft_rtc_back_len3200_factors_10_10_4_4_2_wgs_160_tpt_160_halfLds_dp_op_CI_CI_unitstride_sbrr_R2C_dirReg, .Lfunc_end0-fft_rtc_back_len3200_factors_10_10_4_4_2_wgs_160_tpt_160_halfLds_dp_op_CI_CI_unitstride_sbrr_R2C_dirReg
                                        ; -- End function
	.section	.AMDGPU.csdata,"",@progbits
; Kernel info:
; codeLenInByte = 17928
; NumSgprs: 29
; NumVgprs: 195
; ScratchSize: 0
; MemoryBound: 0
; FloatMode: 240
; IeeeMode: 1
; LDSByteSize: 0 bytes/workgroup (compile time only)
; SGPRBlocks: 3
; VGPRBlocks: 24
; NumSGPRsForWavesPerEU: 29
; NumVGPRsForWavesPerEU: 195
; Occupancy: 4
; WaveLimiterHint : 1
; COMPUTE_PGM_RSRC2:SCRATCH_EN: 0
; COMPUTE_PGM_RSRC2:USER_SGPR: 6
; COMPUTE_PGM_RSRC2:TRAP_HANDLER: 0
; COMPUTE_PGM_RSRC2:TGID_X_EN: 1
; COMPUTE_PGM_RSRC2:TGID_Y_EN: 0
; COMPUTE_PGM_RSRC2:TGID_Z_EN: 0
; COMPUTE_PGM_RSRC2:TIDIG_COMP_CNT: 0
	.text
	.p2alignl 6, 3214868480
	.fill 48, 4, 3214868480
	.type	__hip_cuid_fcfeae623cb9b468,@object ; @__hip_cuid_fcfeae623cb9b468
	.section	.bss,"aw",@nobits
	.globl	__hip_cuid_fcfeae623cb9b468
__hip_cuid_fcfeae623cb9b468:
	.byte	0                               ; 0x0
	.size	__hip_cuid_fcfeae623cb9b468, 1

	.ident	"AMD clang version 19.0.0git (https://github.com/RadeonOpenCompute/llvm-project roc-6.4.0 25133 c7fe45cf4b819c5991fe208aaa96edf142730f1d)"
	.section	".note.GNU-stack","",@progbits
	.addrsig
	.addrsig_sym __hip_cuid_fcfeae623cb9b468
	.amdgpu_metadata
---
amdhsa.kernels:
  - .args:
      - .actual_access:  read_only
        .address_space:  global
        .offset:         0
        .size:           8
        .value_kind:     global_buffer
      - .offset:         8
        .size:           8
        .value_kind:     by_value
      - .actual_access:  read_only
        .address_space:  global
        .offset:         16
        .size:           8
        .value_kind:     global_buffer
      - .actual_access:  read_only
        .address_space:  global
        .offset:         24
        .size:           8
        .value_kind:     global_buffer
      - .actual_access:  read_only
        .address_space:  global
        .offset:         32
        .size:           8
        .value_kind:     global_buffer
      - .offset:         40
        .size:           8
        .value_kind:     by_value
      - .actual_access:  read_only
        .address_space:  global
        .offset:         48
        .size:           8
        .value_kind:     global_buffer
      - .actual_access:  read_only
        .address_space:  global
        .offset:         56
        .size:           8
        .value_kind:     global_buffer
      - .offset:         64
        .size:           4
        .value_kind:     by_value
      - .actual_access:  read_only
        .address_space:  global
        .offset:         72
        .size:           8
        .value_kind:     global_buffer
      - .actual_access:  read_only
        .address_space:  global
        .offset:         80
        .size:           8
        .value_kind:     global_buffer
      - .actual_access:  read_only
        .address_space:  global
        .offset:         88
        .size:           8
        .value_kind:     global_buffer
      - .actual_access:  write_only
        .address_space:  global
        .offset:         96
        .size:           8
        .value_kind:     global_buffer
    .group_segment_fixed_size: 0
    .kernarg_segment_align: 8
    .kernarg_segment_size: 104
    .language:       OpenCL C
    .language_version:
      - 2
      - 0
    .max_flat_workgroup_size: 160
    .name:           fft_rtc_back_len3200_factors_10_10_4_4_2_wgs_160_tpt_160_halfLds_dp_op_CI_CI_unitstride_sbrr_R2C_dirReg
    .private_segment_fixed_size: 0
    .sgpr_count:     29
    .sgpr_spill_count: 0
    .symbol:         fft_rtc_back_len3200_factors_10_10_4_4_2_wgs_160_tpt_160_halfLds_dp_op_CI_CI_unitstride_sbrr_R2C_dirReg.kd
    .uniform_work_group_size: 1
    .uses_dynamic_stack: false
    .vgpr_count:     195
    .vgpr_spill_count: 0
    .wavefront_size: 32
    .workgroup_processor_mode: 1
amdhsa.target:   amdgcn-amd-amdhsa--gfx1030
amdhsa.version:
  - 1
  - 2
...

	.end_amdgpu_metadata
